;; amdgpu-corpus repo=ROCm/rocFFT kind=compiled arch=gfx950 opt=O3
	.text
	.amdgcn_target "amdgcn-amd-amdhsa--gfx950"
	.amdhsa_code_object_version 6
	.protected	bluestein_single_back_len850_dim1_dp_op_CI_CI ; -- Begin function bluestein_single_back_len850_dim1_dp_op_CI_CI
	.globl	bluestein_single_back_len850_dim1_dp_op_CI_CI
	.p2align	8
	.type	bluestein_single_back_len850_dim1_dp_op_CI_CI,@function
bluestein_single_back_len850_dim1_dp_op_CI_CI: ; @bluestein_single_back_len850_dim1_dp_op_CI_CI
; %bb.0:
	s_load_dwordx4 s[12:15], s[0:1], 0x28
	v_mul_u32_u24_e32 v1, 0x304, v0
	v_add_u32_sdwa v8, s2, v1 dst_sel:DWORD dst_unused:UNUSED_PAD src0_sel:DWORD src1_sel:WORD_1
	v_mov_b32_e32 v9, 0
	s_waitcnt lgkmcnt(0)
	v_cmp_gt_u64_e32 vcc, s[12:13], v[8:9]
	s_and_saveexec_b64 s[2:3], vcc
	s_cbranch_execz .LBB0_10
; %bb.1:
	s_load_dwordx4 s[4:7], s[0:1], 0x18
	s_load_dwordx4 s[8:11], s[0:1], 0x0
	v_mov_b32_e32 v2, s14
	v_mov_b32_e32 v3, s15
	s_movk_i32 s2, 0x55
	s_waitcnt lgkmcnt(0)
	s_load_dwordx4 s[12:15], s[4:5], 0x0
	v_mul_lo_u16_sdwa v1, v1, s2 dst_sel:DWORD dst_unused:UNUSED_PAD src0_sel:WORD_1 src1_sel:DWORD
	v_sub_u16_e32 v92, v0, v1
	v_mov_b32_e32 v28, 0x550
	v_lshlrev_b32_e32 v204, 4, v92
	s_waitcnt lgkmcnt(0)
	v_mad_u64_u32 v[0:1], s[2:3], s14, v8, 0
	v_mov_b32_e32 v4, v1
	v_mad_u64_u32 v[4:5], s[2:3], s15, v8, v[4:5]
	v_mov_b32_e32 v1, v4
	v_mad_u64_u32 v[4:5], s[2:3], s12, v92, 0
	v_mov_b32_e32 v6, v5
	v_mad_u64_u32 v[6:7], s[2:3], s13, v92, v[6:7]
	v_mov_b32_e32 v5, v6
	v_lshl_add_u64 v[0:1], v[0:1], 4, v[2:3]
	v_lshl_add_u64 v[0:1], v[4:5], 4, v[0:1]
	global_load_dwordx4 v[40:43], v[0:1], off
	v_mad_u64_u32 v[0:1], s[2:3], s12, v28, v[0:1]
	s_mul_i32 s2, s13, 0x550
	s_nop 0
	v_add_u32_e32 v1, s2, v1
	global_load_dwordx4 v[56:59], v204, s[8:9]
	global_load_dwordx4 v[36:39], v204, s[8:9] offset:1360
	v_mad_u64_u32 v[2:3], s[4:5], s12, v28, v[0:1]
	v_mov_b32_e32 v205, v9
	v_add_u32_e32 v3, s2, v3
	global_load_dwordx4 v[48:51], v[0:1], off
	global_load_dwordx4 v[44:47], v[2:3], off
	global_load_dwordx4 v[32:35], v204, s[8:9] offset:2720
	global_load_dwordx4 v[52:55], v204, s[8:9] offset:4080
	s_movk_i32 s3, 0x1000
	v_lshl_add_u64 v[0:1], s[8:9], 0, v[204:205]
	v_mad_u64_u32 v[4:5], s[4:5], s12, v28, v[2:3]
	v_add_co_u32_e32 v16, vcc, s3, v0
	v_add_u32_e32 v5, s2, v5
	s_movk_i32 s4, 0x2000
	v_addc_co_u32_e32 v17, vcc, 0, v1, vcc
	scratch_store_dwordx2 off, v[8:9], off offset:36 ; 8-byte Folded Spill
	v_add_co_u32_e32 v24, vcc, s4, v0
	v_mad_u64_u32 v[8:9], s[4:5], s12, v28, v[4:5]
	s_nop 0
	v_addc_co_u32_e32 v25, vcc, 0, v1, vcc
	global_load_dwordx4 v[0:3], v[4:5], off
	v_add_u32_e32 v9, s2, v9
	v_mad_u64_u32 v[12:13], s[4:5], s12, v28, v[8:9]
	global_load_dwordx4 v[4:7], v[8:9], off
	global_load_dwordx4 v[80:83], v[16:17], off offset:1344
	global_load_dwordx4 v[76:79], v[16:17], off offset:2704
	v_add_u32_e32 v13, s2, v13
	global_load_dwordx4 v[8:11], v[12:13], off
	v_mad_u64_u32 v[18:19], s[4:5], s12, v28, v[12:13]
	v_add_u32_e32 v19, s2, v19
	v_mad_u64_u32 v[20:21], s[4:5], s12, v28, v[18:19]
	global_load_dwordx4 v[12:15], v[18:19], off
	global_load_dwordx4 v[72:75], v[16:17], off offset:4064
	global_load_dwordx4 v[68:71], v[24:25], off offset:1328
	v_add_u32_e32 v21, s2, v21
	global_load_dwordx4 v[16:19], v[20:21], off
	v_mad_u64_u32 v[26:27], s[4:5], s12, v28, v[20:21]
	v_add_u32_e32 v27, s2, v27
	global_load_dwordx4 v[20:23], v[26:27], off
	global_load_dwordx4 v[64:67], v[24:25], off offset:2688
	global_load_dwordx4 v[60:63], v[24:25], off offset:4048
	v_mad_u64_u32 v[24:25], s[4:5], s12, v28, v[26:27]
	v_add_u32_e32 v25, s2, v25
	global_load_dwordx4 v[24:27], v[24:25], off
	s_load_dwordx4 s[4:7], s[6:7], 0x0
	s_mov_b32 s18, 0x134454ff
	s_mov_b32 s19, 0x3fee6f0e
	s_mov_b32 s12, 0x4755a5e
	s_mov_b32 s15, 0xbfee6f0e
	s_mov_b32 s14, s18
	s_mov_b32 s13, 0x3fe2cf23
	s_mov_b32 s2, 0x372fe950
	s_mov_b32 s17, 0xbfe2cf23
	s_mov_b32 s16, s12
	s_mov_b32 s3, 0x3fd3c6ef
	s_mov_b32 s20, 0x9b97f4a8
	s_mov_b32 s21, 0x3fe9e377
                                        ; implicit-def: $vgpr176_vgpr177
                                        ; implicit-def: $vgpr180_vgpr181
                                        ; implicit-def: $vgpr184_vgpr185
                                        ; implicit-def: $vgpr188_vgpr189
                                        ; implicit-def: $vgpr192_vgpr193
                                        ; implicit-def: $vgpr196_vgpr197
                                        ; implicit-def: $vgpr200_vgpr201
	s_waitcnt vmcnt(19)
	v_accvgpr_write_b32 a16, v56
	v_mul_f64 v[30:31], v[40:41], v[58:59]
	v_mul_f64 v[28:29], v[42:43], v[58:59]
	v_fma_f64 v[30:31], v[42:43], v[56:57], -v[30:31]
	v_fmac_f64_e32 v[28:29], v[40:41], v[56:57]
	ds_write_b128 v204, v[28:31]
	s_waitcnt vmcnt(17)
	v_mul_f64 v[30:31], v[48:49], v[38:39]
	v_mul_f64 v[28:29], v[50:51], v[38:39]
	v_fma_f64 v[30:31], v[50:51], v[36:37], -v[30:31]
	v_fmac_f64_e32 v[28:29], v[48:49], v[36:37]
	ds_write_b128 v204, v[28:31] offset:1360
	s_waitcnt vmcnt(15)
	v_mul_f64 v[30:31], v[44:45], v[34:35]
	v_mul_f64 v[28:29], v[46:47], v[34:35]
	v_fma_f64 v[30:31], v[46:47], v[32:33], -v[30:31]
	v_fmac_f64_e32 v[28:29], v[44:45], v[32:33]
	ds_write_b128 v204, v[28:31] offset:2720
	v_accvgpr_write_b32 a17, v57
	v_accvgpr_write_b32 a18, v58
	;; [unrolled: 1-line block ×3, first 2 shown]
	scratch_store_dwordx4 off, v[36:39], off offset:144 ; 16-byte Folded Spill
	scratch_store_dwordx4 off, v[32:35], off offset:128 ; 16-byte Folded Spill
	s_waitcnt vmcnt(16)
	scratch_store_dwordx4 off, v[52:55], off offset:112 ; 16-byte Folded Spill
	s_waitcnt vmcnt(15)
	v_mul_f64 v[30:31], v[0:1], v[54:55]
	v_mul_f64 v[28:29], v[2:3], v[54:55]
	v_fma_f64 v[30:31], v[2:3], v[52:53], -v[30:31]
	v_fmac_f64_e32 v[28:29], v[0:1], v[52:53]
	s_waitcnt vmcnt(13)
	v_mul_f64 v[0:1], v[6:7], v[82:83]
	v_mul_f64 v[2:3], v[4:5], v[82:83]
	v_fmac_f64_e32 v[0:1], v[4:5], v[80:81]
	v_fma_f64 v[2:3], v[6:7], v[80:81], -v[2:3]
	ds_write_b128 v204, v[0:3] offset:5440
	s_waitcnt vmcnt(11)
	v_mul_f64 v[0:1], v[10:11], v[78:79]
	v_mul_f64 v[2:3], v[8:9], v[78:79]
	v_fmac_f64_e32 v[0:1], v[8:9], v[76:77]
	v_fma_f64 v[2:3], v[10:11], v[76:77], -v[2:3]
	ds_write_b128 v204, v[0:3] offset:6800
	;; [unrolled: 6-line block ×6, first 2 shown]
	scratch_store_dwordx4 off, v[80:83], off offset:96 ; 16-byte Folded Spill
	scratch_store_dwordx4 off, v[76:79], off offset:80 ; 16-byte Folded Spill
	scratch_store_dwordx4 off, v[72:75], off offset:64 ; 16-byte Folded Spill
	scratch_store_dwordx4 off, v[68:71], off offset:48 ; 16-byte Folded Spill
	scratch_store_dwordx4 off, v[64:67], off offset:20 ; 16-byte Folded Spill
	scratch_store_dwordx4 off, v[60:63], off offset:4 ; 16-byte Folded Spill
	ds_write_b128 v204, v[0:3] offset:12240
	s_waitcnt lgkmcnt(0)
	s_barrier
	ds_read_b128 v[40:43], v204 offset:4080
	ds_read_b128 v[44:47], v204 offset:6800
	;; [unrolled: 1-line block ×5, first 2 shown]
	ds_read_b128 v[0:3], v204
	ds_read_b128 v[4:7], v204 offset:2720
	s_waitcnt lgkmcnt(4)
	v_add_f64 v[24:25], v[56:57], v[40:41]
	s_waitcnt lgkmcnt(3)
	v_add_f64 v[16:17], v[44:45], v[48:49]
	;; [unrolled: 2-line block ×3, first 2 shown]
	v_fma_f64 v[32:33], -0.5, v[16:17], v[56:57]
	v_fmac_f64_e32 v[56:57], -0.5, v[20:21]
	v_add_f64 v[20:21], v[44:45], -v[40:41]
	v_add_f64 v[22:23], v[48:49], -v[52:53]
	v_add_f64 v[26:27], v[20:21], v[22:23]
	v_add_f64 v[20:21], v[46:47], v[50:51]
	v_fma_f64 v[34:35], -0.5, v[20:21], v[58:59]
	v_add_f64 v[20:21], v[42:43], v[54:55]
	v_add_f64 v[36:37], v[46:47], -v[50:51]
	ds_read_b128 v[8:11], v204 offset:5440
	ds_read_b128 v[12:15], v204 offset:8160
	v_add_f64 v[28:29], v[58:59], v[42:43]
	v_fmac_f64_e32 v[58:59], -0.5, v[20:21]
	v_fma_f64 v[38:39], s[14:15], v[36:37], v[56:57]
	v_fmac_f64_e32 v[56:57], s[18:19], v[36:37]
	v_add_f64 v[60:61], v[42:43], -v[54:55]
	v_add_f64 v[62:63], v[44:45], -v[48:49]
	ds_read_b128 v[16:19], v204 offset:10880
	v_add_f64 v[20:21], v[46:47], -v[42:43]
	v_add_f64 v[22:23], v[50:51], -v[54:55]
	v_fmac_f64_e32 v[56:57], s[16:17], v[60:61]
	v_fma_f64 v[64:65], s[18:19], v[62:63], v[58:59]
	v_fmac_f64_e32 v[58:59], s[14:15], v[62:63]
	v_add_f64 v[66:67], v[40:41], -v[52:53]
	v_add_f64 v[30:31], v[20:21], v[22:23]
	v_fmac_f64_e32 v[56:57], s[2:3], v[26:27]
	v_fmac_f64_e32 v[58:59], s[12:13], v[66:67]
	;; [unrolled: 1-line block ×3, first 2 shown]
	v_mul_f64 v[20:21], v[56:57], s[2:3]
	v_fma_f64 v[68:69], v[58:59], s[18:19], -v[20:21]
	v_mul_f64 v[20:21], v[58:59], s[2:3]
	v_fma_f64 v[56:57], v[56:57], s[14:15], -v[20:21]
	s_waitcnt lgkmcnt(1)
	v_add_f64 v[20:21], v[8:9], v[12:13]
	v_fma_f64 v[58:59], -0.5, v[20:21], v[0:1]
	s_waitcnt lgkmcnt(0)
	v_add_f64 v[20:21], v[4:5], v[16:17]
	v_add_f64 v[70:71], v[0:1], v[4:5]
	v_fmac_f64_e32 v[0:1], -0.5, v[20:21]
	v_add_f64 v[20:21], v[8:9], -v[4:5]
	v_add_f64 v[22:23], v[12:13], -v[16:17]
	v_add_f64 v[72:73], v[20:21], v[22:23]
	v_add_f64 v[20:21], v[10:11], v[14:15]
	v_fma_f64 v[74:75], -0.5, v[20:21], v[2:3]
	v_add_f64 v[20:21], v[6:7], v[18:19]
	v_add_f64 v[76:77], v[2:3], v[6:7]
	v_fmac_f64_e32 v[2:3], -0.5, v[20:21]
	v_add_f64 v[86:87], v[8:9], -v[12:13]
	v_add_f64 v[20:21], v[10:11], -v[6:7]
	;; [unrolled: 1-line block ×4, first 2 shown]
	v_fma_f64 v[88:89], s[18:19], v[86:87], v[2:3]
	v_fmac_f64_e32 v[2:3], s[14:15], v[86:87]
	v_add_f64 v[90:91], v[4:5], -v[16:17]
	v_add_f64 v[78:79], v[20:21], v[22:23]
	v_fma_f64 v[82:83], s[14:15], v[80:81], v[0:1]
	v_fmac_f64_e32 v[0:1], s[18:19], v[80:81]
	v_add_f64 v[84:85], v[6:7], -v[18:19]
	v_fmac_f64_e32 v[2:3], s[12:13], v[90:91]
	v_fmac_f64_e32 v[0:1], s[16:17], v[84:85]
	;; [unrolled: 1-line block ×4, first 2 shown]
	v_add_f64 v[22:23], v[2:3], v[56:57]
	v_add_f64 v[2:3], v[2:3], -v[56:57]
	v_add_f64 v[56:57], v[4:5], -v[8:9]
	v_add_f64 v[4:5], v[70:71], v[8:9]
	v_add_f64 v[20:21], v[0:1], v[68:69]
	v_add_f64 v[0:1], v[0:1], -v[68:69]
	v_add_f64 v[68:69], v[6:7], -v[10:11]
	v_add_f64 v[6:7], v[76:77], v[10:11]
	v_add_f64 v[4:5], v[4:5], v[12:13]
	v_add_f64 v[6:7], v[6:7], v[14:15]
	v_add_f64 v[8:9], v[4:5], v[16:17]
	v_add_f64 v[4:5], v[24:25], v[44:45]
	v_add_f64 v[10:11], v[6:7], v[18:19]
	v_add_f64 v[6:7], v[28:29], v[46:47]
	v_add_f64 v[4:5], v[4:5], v[48:49]
	v_add_f64 v[12:13], v[16:17], -v[12:13]
	v_add_f64 v[16:17], v[40:41], -v[44:45]
	v_add_f64 v[6:7], v[6:7], v[50:51]
	v_add_f64 v[40:41], v[4:5], v[52:53]
	v_add_f64 v[14:15], v[18:19], -v[14:15]
	v_add_f64 v[18:19], v[42:43], -v[46:47]
	;; [unrolled: 1-line block ×3, first 2 shown]
	v_add_f64 v[42:43], v[6:7], v[54:55]
	v_add_f64 v[4:5], v[8:9], v[40:41]
	v_add_f64 v[8:9], v[8:9], -v[40:41]
	v_add_f64 v[40:41], v[56:57], v[12:13]
	v_fma_f64 v[12:13], s[18:19], v[60:61], v[32:33]
	v_add_f64 v[28:29], v[54:55], -v[50:51]
	v_add_f64 v[6:7], v[10:11], v[42:43]
	v_add_f64 v[10:11], v[10:11], -v[42:43]
	v_add_f64 v[42:43], v[68:69], v[14:15]
	v_add_f64 v[44:45], v[16:17], v[24:25]
	v_fmac_f64_e32 v[12:13], s[12:13], v[36:37]
	v_fma_f64 v[14:15], s[14:15], v[66:67], v[34:35]
	v_fmac_f64_e32 v[32:33], s[14:15], v[60:61]
	v_add_f64 v[46:47], v[18:19], v[28:29]
	v_fmac_f64_e32 v[12:13], s[2:3], v[44:45]
	v_fmac_f64_e32 v[14:15], s[16:17], v[62:63]
	v_fma_f64 v[28:29], s[14:15], v[90:91], v[74:75]
	v_fmac_f64_e32 v[32:33], s[16:17], v[36:37]
	v_fmac_f64_e32 v[34:35], s[18:19], v[66:67]
	;; [unrolled: 1-line block ×3, first 2 shown]
	v_mul_f64 v[18:19], v[12:13], s[16:17]
	v_fma_f64 v[24:25], s[18:19], v[84:85], v[58:59]
	v_fmac_f64_e32 v[28:29], s[16:17], v[86:87]
	v_fmac_f64_e32 v[64:65], s[16:17], v[66:67]
	;; [unrolled: 1-line block ×5, first 2 shown]
	v_mul_f64 v[16:17], v[12:13], s[20:21]
	v_fmac_f64_e32 v[18:19], s[20:21], v[14:15]
	v_fmac_f64_e32 v[28:29], s[2:3], v[42:43]
	v_fmac_f64_e32 v[38:39], s[12:13], v[60:61]
	v_fmac_f64_e32 v[64:65], s[2:3], v[30:31]
	v_fmac_f64_e32 v[58:59], s[16:17], v[80:81]
	v_fmac_f64_e32 v[34:35], s[2:3], v[46:47]
	v_mul_f64 v[36:37], v[32:33], s[20:21]
	v_fmac_f64_e32 v[16:17], s[12:13], v[14:15]
	v_fmac_f64_e32 v[24:25], s[12:13], v[80:81]
	v_add_f64 v[14:15], v[28:29], v[18:19]
	v_add_f64 v[18:19], v[28:29], -v[18:19]
	v_fmac_f64_e32 v[38:39], s[2:3], v[26:27]
	v_mul_f64 v[28:29], v[64:65], s[18:19]
	v_fmac_f64_e32 v[58:59], s[2:3], v[40:41]
	v_fmac_f64_e32 v[74:75], s[18:19], v[90:91]
	v_fma_f64 v[36:37], v[34:35], s[12:13], -v[36:37]
	v_mul_f64 v[34:35], v[34:35], s[20:21]
	v_fmac_f64_e32 v[24:25], s[2:3], v[40:41]
	v_fmac_f64_e32 v[82:83], s[12:13], v[84:85]
	;; [unrolled: 1-line block ×4, first 2 shown]
	v_mul_f64 v[30:31], v[38:39], s[14:15]
	v_fmac_f64_e32 v[74:75], s[12:13], v[86:87]
	v_fma_f64 v[40:41], v[32:33], s[16:17], -v[34:35]
	v_add_f64 v[32:33], v[58:59], v[36:37]
	v_add_f64 v[38:39], v[58:59], -v[36:37]
	v_mul_lo_u16_e32 v36, 10, v92
	v_fmac_f64_e32 v[82:83], s[2:3], v[72:73]
	v_fmac_f64_e32 v[88:89], s[2:3], v[78:79]
	;; [unrolled: 1-line block ×4, first 2 shown]
	v_lshlrev_b32_e32 v36, 4, v36
	s_movk_i32 s20, 0xcd
	v_add_f64 v[12:13], v[24:25], v[16:17]
	v_add_f64 v[16:17], v[24:25], -v[16:17]
	v_add_f64 v[24:25], v[82:83], v[28:29]
	v_add_f64 v[26:27], v[88:89], v[30:31]
	v_add_f64 v[28:29], v[82:83], -v[28:29]
	v_add_f64 v[30:31], v[88:89], -v[30:31]
	v_add_f64 v[34:35], v[74:75], v[40:41]
	v_add_f64 v[40:41], v[74:75], -v[40:41]
	s_barrier
	ds_write_b128 v36, v[4:7]
	ds_write_b128 v36, v[12:15] offset:16
	ds_write_b128 v36, v[24:27] offset:32
	;; [unrolled: 1-line block ×9, first 2 shown]
	v_mul_lo_u16_sdwa v0, v92, s20 dst_sel:DWORD dst_unused:UNUSED_PAD src0_sel:BYTE_0 src1_sel:DWORD
	v_lshrrev_b16_e32 v37, 11, v0
	v_mul_lo_u16_e32 v0, 10, v37
	v_sub_u16_e32 v0, v92, v0
	v_and_b32_e32 v60, 0xff, v0
	v_lshlrev_b32_e32 v0, 6, v60
	s_waitcnt lgkmcnt(0)
	s_barrier
	global_load_dwordx4 v[44:47], v0, s[10:11]
	global_load_dwordx4 v[40:43], v0, s[10:11] offset:16
	global_load_dwordx4 v[52:55], v0, s[10:11] offset:32
	;; [unrolled: 1-line block ×3, first 2 shown]
	v_add_u16_e32 v0, 0x55, v92
	v_mul_lo_u16_sdwa v1, v0, s20 dst_sel:DWORD dst_unused:UNUSED_PAD src0_sel:BYTE_0 src1_sel:DWORD
	v_lshrrev_b16_e32 v61, 11, v1
	v_mul_lo_u16_e32 v1, 10, v61
	v_sub_u16_e32 v0, v0, v1
	v_and_b32_e32 v62, 0xff, v0
	v_lshlrev_b32_e32 v0, 6, v62
	global_load_dwordx4 v[64:67], v0, s[10:11]
	global_load_dwordx4 v[72:75], v0, s[10:11] offset:16
	global_load_dwordx4 v[76:79], v0, s[10:11] offset:32
	;; [unrolled: 1-line block ×3, first 2 shown]
	ds_read_b128 v[0:3], v204 offset:2720
	ds_read_b128 v[4:7], v204 offset:4080
	;; [unrolled: 1-line block ×3, first 2 shown]
	ds_read_b128 v[140:143], v204
	ds_read_b128 v[152:155], v204 offset:1360
	s_waitcnt vmcnt(7) lgkmcnt(4)
	v_mul_f64 v[12:13], v[2:3], v[46:47]
	v_mul_f64 v[22:23], v[0:1], v[46:47]
	v_fma_f64 v[20:21], v[0:1], v[44:45], -v[12:13]
	v_fmac_f64_e32 v[22:23], v[2:3], v[44:45]
	ds_read_b128 v[0:3], v204 offset:6800
	s_waitcnt vmcnt(6) lgkmcnt(3)
	v_mul_f64 v[16:17], v[10:11], v[42:43]
	ds_read_b128 v[12:15], v204 offset:8160
	v_fma_f64 v[24:25], v[8:9], v[40:41], -v[16:17]
	ds_read_b128 v[16:19], v204 offset:10880
	v_mul_f64 v[26:27], v[8:9], v[42:43]
	v_fmac_f64_e32 v[26:27], v[10:11], v[40:41]
	ds_read_b128 v[8:11], v204 offset:9520
	s_waitcnt vmcnt(5) lgkmcnt(2)
	v_mul_f64 v[28:29], v[14:15], v[54:55]
	v_mul_f64 v[30:31], v[12:13], v[54:55]
	v_fma_f64 v[28:29], v[12:13], v[52:53], -v[28:29]
	v_fmac_f64_e32 v[30:31], v[14:15], v[52:53]
	ds_read_b128 v[12:15], v204 offset:12240
	s_waitcnt vmcnt(4) lgkmcnt(2)
	v_mul_f64 v[32:33], v[18:19], v[58:59]
	v_fma_f64 v[32:33], v[16:17], v[56:57], -v[32:33]
	v_mul_f64 v[16:17], v[16:17], v[58:59]
	v_fmac_f64_e32 v[16:17], v[18:19], v[56:57]
	s_waitcnt vmcnt(3)
	v_mul_f64 v[18:19], v[6:7], v[66:67]
	v_fma_f64 v[18:19], v[4:5], v[64:65], -v[18:19]
	v_mul_f64 v[4:5], v[4:5], v[66:67]
	v_fmac_f64_e32 v[4:5], v[6:7], v[64:65]
	s_waitcnt vmcnt(2)
	v_mul_f64 v[6:7], v[2:3], v[74:75]
	v_fma_f64 v[6:7], v[0:1], v[72:73], -v[6:7]
	v_mul_f64 v[0:1], v[0:1], v[74:75]
	v_fmac_f64_e32 v[0:1], v[2:3], v[72:73]
	s_waitcnt vmcnt(1) lgkmcnt(1)
	v_mul_f64 v[2:3], v[10:11], v[78:79]
	v_fma_f64 v[2:3], v[8:9], v[76:77], -v[2:3]
	v_mul_f64 v[8:9], v[8:9], v[78:79]
	v_fmac_f64_e32 v[8:9], v[10:11], v[76:77]
	s_waitcnt vmcnt(0) lgkmcnt(0)
	v_mul_f64 v[10:11], v[14:15], v[82:83]
	v_fma_f64 v[10:11], v[12:13], v[80:81], -v[10:11]
	v_mul_f64 v[12:13], v[12:13], v[82:83]
	v_fmac_f64_e32 v[12:13], v[14:15], v[80:81]
	v_add_f64 v[14:15], v[20:21], -v[24:25]
	v_add_f64 v[34:35], v[32:33], -v[28:29]
	v_add_f64 v[14:15], v[14:15], v[34:35]
	v_add_f64 v[34:35], v[24:25], v[28:29]
	v_fma_f64 v[144:145], -0.5, v[34:35], v[140:141]
	v_add_f64 v[34:35], v[22:23], -v[16:17]
	v_add_f64 v[38:39], v[26:27], -v[30:31]
	v_fma_f64 v[136:137], s[18:19], v[34:35], v[144:145]
	v_fmac_f64_e32 v[144:145], s[14:15], v[34:35]
	v_fmac_f64_e32 v[136:137], s[12:13], v[38:39]
	;; [unrolled: 1-line block ×5, first 2 shown]
	v_add_f64 v[14:15], v[140:141], v[20:21]
	v_add_f64 v[14:15], v[14:15], v[24:25]
	;; [unrolled: 1-line block ×6, first 2 shown]
	v_fmac_f64_e32 v[140:141], -0.5, v[48:49]
	v_fma_f64 v[146:147], -0.5, v[14:15], v[142:143]
	v_add_f64 v[14:15], v[20:21], -v[32:33]
	v_add_f64 v[48:49], v[24:25], -v[20:21]
	;; [unrolled: 1-line block ×3, first 2 shown]
	v_fma_f64 v[148:149], s[14:15], v[38:39], v[140:141]
	v_fmac_f64_e32 v[140:141], s[18:19], v[38:39]
	v_add_f64 v[20:21], v[24:25], -v[28:29]
	v_add_f64 v[24:25], v[22:23], -v[26:27]
	;; [unrolled: 1-line block ×3, first 2 shown]
	v_fma_f64 v[138:139], s[14:15], v[14:15], v[146:147]
	v_fmac_f64_e32 v[146:147], s[18:19], v[14:15]
	v_fmac_f64_e32 v[148:149], s[12:13], v[34:35]
	;; [unrolled: 1-line block ×3, first 2 shown]
	v_add_f64 v[34:35], v[142:143], v[22:23]
	v_add_f64 v[24:25], v[24:25], v[28:29]
	v_fmac_f64_e32 v[138:139], s[16:17], v[20:21]
	v_fmac_f64_e32 v[146:147], s[12:13], v[20:21]
	v_add_f64 v[34:35], v[34:35], v[26:27]
	v_fmac_f64_e32 v[138:139], s[2:3], v[24:25]
	v_fmac_f64_e32 v[146:147], s[2:3], v[24:25]
	v_add_f64 v[24:25], v[22:23], v[16:17]
	v_add_f64 v[34:35], v[34:35], v[30:31]
	v_fmac_f64_e32 v[142:143], -0.5, v[24:25]
	v_add_f64 v[166:167], v[34:35], v[16:17]
	v_add_f64 v[22:23], v[26:27], -v[22:23]
	v_add_f64 v[16:17], v[30:31], -v[16:17]
	v_fma_f64 v[150:151], s[18:19], v[20:21], v[142:143]
	v_fmac_f64_e32 v[142:143], s[14:15], v[20:21]
	v_add_f64 v[16:17], v[22:23], v[16:17]
	v_fmac_f64_e32 v[150:151], s[16:17], v[14:15]
	v_fmac_f64_e32 v[142:143], s[12:13], v[14:15]
	;; [unrolled: 1-line block ×4, first 2 shown]
	v_add_f64 v[14:15], v[18:19], -v[6:7]
	v_add_f64 v[16:17], v[10:11], -v[2:3]
	v_add_f64 v[14:15], v[14:15], v[16:17]
	v_add_f64 v[16:17], v[6:7], v[2:3]
	v_fma_f64 v[160:161], -0.5, v[16:17], v[152:153]
	v_add_f64 v[16:17], v[4:5], -v[12:13]
	v_add_f64 v[20:21], v[0:1], -v[8:9]
	v_fma_f64 v[156:157], s[18:19], v[16:17], v[160:161]
	v_fmac_f64_e32 v[160:161], s[14:15], v[16:17]
	v_fmac_f64_e32 v[156:157], s[12:13], v[20:21]
	;; [unrolled: 1-line block ×5, first 2 shown]
	v_add_f64 v[14:15], v[152:153], v[18:19]
	v_add_f64 v[14:15], v[14:15], v[6:7]
	;; [unrolled: 1-line block ×6, first 2 shown]
	v_add_f64 v[24:25], v[2:3], -v[10:11]
	v_fma_f64 v[162:163], -0.5, v[14:15], v[154:155]
	v_add_f64 v[10:11], v[18:19], -v[10:11]
	v_fmac_f64_e32 v[152:153], -0.5, v[22:23]
	v_add_f64 v[22:23], v[6:7], -v[18:19]
	v_add_f64 v[2:3], v[6:7], -v[2:3]
	;; [unrolled: 1-line block ×4, first 2 shown]
	v_fma_f64 v[158:159], s[14:15], v[10:11], v[162:163]
	v_fmac_f64_e32 v[162:163], s[18:19], v[10:11]
	v_add_f64 v[6:7], v[6:7], v[14:15]
	v_fmac_f64_e32 v[158:159], s[16:17], v[2:3]
	v_fmac_f64_e32 v[162:163], s[12:13], v[2:3]
	v_fma_f64 v[168:169], s[14:15], v[20:21], v[152:153]
	v_fmac_f64_e32 v[152:153], s[18:19], v[20:21]
	v_fmac_f64_e32 v[158:159], s[2:3], v[6:7]
	;; [unrolled: 1-line block ×3, first 2 shown]
	v_add_f64 v[6:7], v[4:5], v[12:13]
	v_fmac_f64_e32 v[168:169], s[12:13], v[16:17]
	v_fmac_f64_e32 v[152:153], s[16:17], v[16:17]
	v_add_f64 v[16:17], v[154:155], v[4:5]
	v_fmac_f64_e32 v[154:155], -0.5, v[6:7]
	v_add_f64 v[16:17], v[16:17], v[0:1]
	v_add_f64 v[0:1], v[0:1], -v[4:5]
	v_add_f64 v[4:5], v[8:9], -v[12:13]
	v_fma_f64 v[170:171], s[18:19], v[2:3], v[154:155]
	v_fmac_f64_e32 v[154:155], s[14:15], v[2:3]
	v_add_f64 v[48:49], v[48:49], v[50:51]
	v_add_f64 v[22:23], v[22:23], v[24:25]
	;; [unrolled: 1-line block ×3, first 2 shown]
	v_fmac_f64_e32 v[170:171], s[16:17], v[10:11]
	v_fmac_f64_e32 v[154:155], s[12:13], v[10:11]
	v_fmac_f64_e32 v[148:149], s[2:3], v[48:49]
	v_fmac_f64_e32 v[140:141], s[2:3], v[48:49]
	v_fmac_f64_e32 v[168:169], s[2:3], v[22:23]
	v_fmac_f64_e32 v[152:153], s[2:3], v[22:23]
	v_fmac_f64_e32 v[170:171], s[2:3], v[0:1]
	v_fmac_f64_e32 v[154:155], s[2:3], v[0:1]
	s_load_dwordx2 s[2:3], s[0:1], 0x38
	v_mul_u32_u24_e32 v0, 50, v37
	v_add_f64 v[16:17], v[16:17], v[8:9]
	v_add_lshl_u32 v1, v0, v60, 4
	v_mul_u32_u24_e32 v0, 50, v61
	v_add_f64 v[174:175], v[16:17], v[12:13]
	v_add_lshl_u32 v37, v0, v62, 4
	v_cmp_gt_u16_e64 s[0:1], 50, v92
	s_waitcnt lgkmcnt(0)
	s_barrier
	ds_write_b128 v1, v[164:167]
	ds_write_b128 v1, v[136:139] offset:160
	ds_write_b128 v1, v[148:151] offset:320
	;; [unrolled: 1-line block ×3, first 2 shown]
	scratch_store_dword off, v1, off        ; 4-byte Folded Spill
	ds_write_b128 v1, v[144:147] offset:640
	ds_write_b128 v37, v[172:175]
	ds_write_b128 v37, v[156:159] offset:160
	ds_write_b128 v37, v[168:171] offset:320
	;; [unrolled: 1-line block ×4, first 2 shown]
	s_waitcnt lgkmcnt(0)
	s_barrier
	scratch_store_dword off, v92, off offset:44 ; 4-byte Folded Spill
	s_and_saveexec_b64 s[12:13], s[0:1]
	s_cbranch_execz .LBB0_3
; %bb.2:
	ds_read_b128 v[164:167], v204
	ds_read_b128 v[136:139], v204 offset:800
	ds_read_b128 v[148:151], v204 offset:1600
	;; [unrolled: 1-line block ×16, first 2 shown]
.LBB0_3:
	s_or_b64 exec, exec, s[12:13]
	s_movk_i32 s12, 0xfce0
	v_mov_b32_e32 v205, 0
	s_mov_b32 s13, -1
	v_lshl_add_u64 v[0:1], v[204:205], 0, s[12:13]
	v_cndmask_b32_e64 v1, v1, 0, s[0:1]
	v_cndmask_b32_e64 v0, v0, v204, s[0:1]
	v_lshl_add_u64 v[0:1], v[0:1], 4, s[10:11]
	global_load_dwordx4 v[32:35], v[0:1], off offset:640
	global_load_dwordx4 v[48:51], v[0:1], off offset:656
	;; [unrolled: 1-line block ×16, first 2 shown]
	s_mov_b32 s26, 0x5d8e7cdc
	s_mov_b32 s27, 0xbfd71e95
	;; [unrolled: 1-line block ×48, first 2 shown]
	s_waitcnt vmcnt(15) lgkmcnt(14)
	v_mul_f64 v[0:1], v[138:139], v[34:35]
	v_mul_f64 v[208:209], v[136:137], v[34:35]
	s_waitcnt vmcnt(14)
	v_mul_f64 v[2:3], v[150:151], v[50:51]
	v_mul_f64 v[210:211], v[148:149], v[50:51]
	s_waitcnt vmcnt(13) lgkmcnt(13)
	v_mul_f64 v[4:5], v[142:143], v[62:63]
	s_waitcnt vmcnt(10) lgkmcnt(10)
	;; [unrolled: 2-line block ×3, first 2 shown]
	v_mul_f64 v[12:13], v[170:171], v[102:103]
	v_fma_f64 v[38:39], v[136:137], v[32:33], -v[0:1]
	v_accvgpr_write_b32 a47, v35
	v_fmac_f64_e32 v[208:209], v[138:139], v[32:33]
	v_accvgpr_write_b32 a48, v48
	v_mul_f64 v[212:213], v[140:141], v[62:63]
	v_mul_f64 v[6:7], v[146:147], v[70:71]
	;; [unrolled: 1-line block ×3, first 2 shown]
	s_waitcnt vmcnt(1) lgkmcnt(1)
	v_mul_f64 v[28:29], v[198:199], v[98:99]
	s_waitcnt vmcnt(0) lgkmcnt(0)
	v_mul_f64 v[30:31], v[202:203], v[90:91]
	v_mul_f64 v[244:245], v[200:201], v[90:91]
	;; [unrolled: 1-line block ×3, first 2 shown]
	v_fma_f64 v[0:1], v[200:201], v[88:89], -v[30:31]
	v_fmac_f64_e32 v[244:245], v[202:203], v[88:89]
	v_mul_f64 v[10:11], v[158:159], v[94:95]
	v_mul_f64 v[220:221], v[168:169], v[102:103]
	v_accvgpr_write_b32 a46, v34
	v_accvgpr_write_b32 a45, v33
	;; [unrolled: 1-line block ×3, first 2 shown]
	v_fma_f64 v[32:33], v[148:149], v[48:49], -v[2:3]
	v_accvgpr_write_b32 a49, v49
	v_accvgpr_write_b32 a50, v50
	;; [unrolled: 1-line block ×3, first 2 shown]
	v_fmac_f64_e32 v[210:211], v[150:151], v[48:49]
	v_fma_f64 v[48:49], v[140:141], v[60:61], -v[4:5]
	v_accvgpr_write_b32 a52, v60
	v_fmac_f64_e32 v[218:219], v[158:159], v[92:93]
	v_fma_f64 v[158:159], v[168:169], v[100:101], -v[12:13]
	v_fma_f64 v[4:5], v[196:197], v[96:97], -v[28:29]
	v_fmac_f64_e32 v[236:237], v[198:199], v[96:97]
	v_accvgpr_write_b32 a155, v1
	v_add_f64 v[168:169], v[208:209], -v[244:245]
	v_mul_f64 v[216:217], v[172:173], v[86:87]
	v_accvgpr_write_b32 a53, v61
	v_accvgpr_write_b32 a54, v62
	;; [unrolled: 1-line block ×3, first 2 shown]
	v_fmac_f64_e32 v[212:213], v[142:143], v[60:61]
	v_fma_f64 v[60:61], v[144:145], v[68:69], -v[6:7]
	v_fma_f64 v[6:7], v[172:173], v[84:85], -v[8:9]
	v_fmac_f64_e32 v[220:221], v[170:171], v[100:101]
	v_add_f64 v[200:201], v[38:39], v[0:1]
	v_accvgpr_write_b32 a154, v0
	v_add_f64 v[172:173], v[38:39], -v[0:1]
	v_mul_f64 v[0:1], v[168:169], s[26:27]
	v_accvgpr_write_b32 a153, v5
	v_add_f64 v[170:171], v[210:211], -v[236:237]
	v_fmac_f64_e32 v[216:217], v[174:175], v[84:85]
	v_mul_f64 v[2:3], v[172:173], s[26:27]
	v_accvgpr_write_b32 a157, v1
	v_add_f64 v[202:203], v[32:33], v[4:5]
	v_accvgpr_write_b32 a152, v4
	v_add_f64 v[174:175], v[32:33], -v[4:5]
	v_mul_f64 v[4:5], v[170:171], s[28:29]
	v_mul_f64 v[20:21], v[182:183], v[118:119]
	;; [unrolled: 1-line block ×4, first 2 shown]
	v_add_f64 v[198:199], v[208:209], v[244:245]
	v_accvgpr_write_b32 a156, v0
	v_fma_f64 v[0:1], s[10:11], v[200:201], v[0:1]
	v_accvgpr_write_b32 a159, v3
	v_accvgpr_write_b32 a161, v5
	v_mul_f64 v[226:227], v[176:177], v[126:127]
	v_fma_f64 v[12:13], v[180:181], v[116:117], -v[20:21]
	v_fma_f64 v[20:21], v[188:189], v[120:121], -v[24:25]
	v_fmac_f64_e32 v[234:235], v[194:195], v[108:109]
	v_add_f64 v[0:1], v[164:165], v[0:1]
	v_accvgpr_write_b32 a158, v2
	v_fma_f64 v[2:3], v[198:199], s[10:11], -v[2:3]
	v_add_f64 v[248:249], v[210:211], v[236:237]
	v_mul_f64 v[24:25], v[174:175], s[28:29]
	v_accvgpr_write_b32 a160, v4
	v_fma_f64 v[4:5], s[14:15], v[202:203], v[4:5]
	v_mul_f64 v[18:19], v[178:179], v[126:127]
	v_mul_f64 v[22:23], v[186:187], v[106:107]
	;; [unrolled: 1-line block ×3, first 2 shown]
	v_fmac_f64_e32 v[226:227], v[178:179], v[124:125]
	v_add_f64 v[2:3], v[166:167], v[2:3]
	v_add_f64 v[0:1], v[4:5], v[0:1]
	v_fma_f64 v[4:5], v[248:249], s[14:15], -v[24:25]
	v_add_f64 v[178:179], v[212:213], -v[234:235]
	v_fma_f64 v[8:9], v[156:157], v[92:93], -v[10:11]
	v_fma_f64 v[10:11], v[176:177], v[124:125], -v[18:19]
	;; [unrolled: 1-line block ×4, first 2 shown]
	v_add_f64 v[2:3], v[4:5], v[2:3]
	v_mul_f64 v[4:5], v[178:179], s[30:31]
	v_add_f64 v[250:251], v[48:49], v[22:23]
	v_accvgpr_write_b32 a165, v5
	v_accvgpr_write_b32 a164, v4
	v_fma_f64 v[4:5], s[12:13], v[250:251], v[4:5]
	v_add_f64 v[176:177], v[48:49], -v[22:23]
	v_mul_f64 v[214:215], v[144:145], v[70:71]
	v_mul_f64 v[232:233], v[188:189], v[122:123]
	v_add_f64 v[0:1], v[4:5], v[0:1]
	v_mul_f64 v[4:5], v[176:177], s[30:31]
	v_mul_f64 v[228:229], v[180:181], v[118:119]
	v_fmac_f64_e32 v[214:215], v[146:147], v[68:69]
	v_fmac_f64_e32 v[232:233], v[190:191], v[120:121]
	v_add_f64 v[252:253], v[212:213], v[234:235]
	v_accvgpr_write_b32 a167, v5
	v_fmac_f64_e32 v[228:229], v[182:183], v[116:117]
	v_accvgpr_write_b32 a166, v4
	v_fma_f64 v[4:5], v[252:253], s[12:13], -v[4:5]
	v_add_f64 v[182:183], v[214:215], -v[232:233]
	v_add_f64 v[2:3], v[4:5], v[2:3]
	v_mul_f64 v[4:5], v[182:183], s[36:37]
	v_add_f64 v[254:255], v[60:61], v[20:21]
	v_accvgpr_write_b32 a169, v5
	v_accvgpr_write_b32 a168, v4
	v_fma_f64 v[4:5], s[16:17], v[254:255], v[4:5]
	v_add_f64 v[180:181], v[60:61], -v[20:21]
	v_mul_f64 v[230:231], v[184:185], v[106:107]
	v_add_f64 v[0:1], v[4:5], v[0:1]
	v_mul_f64 v[4:5], v[180:181], s[36:37]
	v_fmac_f64_e32 v[230:231], v[186:187], v[104:105]
	v_add_f64 v[206:207], v[214:215], v[232:233]
	v_accvgpr_write_b32 a171, v5
	v_accvgpr_write_b32 a170, v4
	v_fma_f64 v[4:5], v[206:207], s[16:17], -v[4:5]
	v_add_f64 v[186:187], v[216:217], -v[230:231]
	v_add_f64 v[2:3], v[4:5], v[2:3]
	v_mul_f64 v[4:5], v[186:187], s[38:39]
	v_add_f64 v[240:241], v[6:7], v[18:19]
	v_accvgpr_write_b32 a173, v5
	v_accvgpr_write_b32 a172, v4
	v_fma_f64 v[4:5], s[18:19], v[240:241], v[4:5]
	v_add_f64 v[184:185], v[6:7], -v[18:19]
	v_add_f64 v[0:1], v[4:5], v[0:1]
	v_mul_f64 v[4:5], v[184:185], s[38:39]
	v_add_f64 v[242:243], v[216:217], v[230:231]
	v_accvgpr_write_b32 a135, v7
	v_accvgpr_write_b32 a175, v5
	;; [unrolled: 1-line block ×4, first 2 shown]
	v_fma_f64 v[4:5], v[242:243], s[18:19], -v[4:5]
	v_add_f64 v[6:7], v[218:219], -v[228:229]
	v_add_f64 v[2:3], v[4:5], v[2:3]
	v_mul_f64 v[4:5], v[6:7], s[40:41]
	v_add_f64 v[192:193], v[8:9], v[12:13]
	v_accvgpr_write_b32 a177, v5
	v_accvgpr_write_b32 a176, v4
	v_fma_f64 v[4:5], s[20:21], v[192:193], v[4:5]
	v_add_f64 v[0:1], v[4:5], v[0:1]
	v_accvgpr_write_b32 a137, v9
	v_add_f64 v[4:5], v[8:9], -v[12:13]
	v_accvgpr_write_b32 a136, v8
	v_mul_f64 v[8:9], v[4:5], s[40:41]
	v_add_f64 v[194:195], v[218:219], v[228:229]
	v_accvgpr_write_b32 a179, v9
	v_accvgpr_write_b32 a178, v8
	v_fma_f64 v[8:9], v[194:195], s[20:21], -v[8:9]
	v_add_f64 v[50:51], v[220:221], -v[226:227]
	v_add_f64 v[2:3], v[8:9], v[2:3]
	v_mul_f64 v[8:9], v[50:51], s[42:43]
	v_accvgpr_write_b32 a145, v13
	v_add_f64 v[246:247], v[158:159], v[10:11]
	v_accvgpr_write_b32 a181, v9
	v_accvgpr_write_b32 a144, v12
	;; [unrolled: 1-line block ×3, first 2 shown]
	v_fma_f64 v[8:9], s[22:23], v[246:247], v[8:9]
	v_add_f64 v[12:13], v[158:159], -v[10:11]
	v_mul_f64 v[222:223], v[152:153], v[114:115]
	v_mul_f64 v[224:225], v[160:161], v[130:131]
	v_add_f64 v[0:1], v[8:9], v[0:1]
	v_mul_f64 v[8:9], v[12:13], s[42:43]
	v_accvgpr_write_b32 a60, v84
	v_fmac_f64_e32 v[222:223], v[154:155], v[112:113]
	v_fmac_f64_e32 v[224:225], v[162:163], v[128:129]
	v_add_f64 v[196:197], v[220:221], v[226:227]
	v_accvgpr_write_b32 a183, v9
	v_mul_f64 v[14:15], v[154:155], v[114:115]
	v_mul_f64 v[16:17], v[162:163], v[130:131]
	v_accvgpr_write_b32 a61, v85
	v_accvgpr_write_b32 a62, v86
	;; [unrolled: 1-line block ×5, first 2 shown]
	v_fma_f64 v[8:9], v[196:197], s[22:23], -v[8:9]
	v_add_f64 v[86:87], v[222:223], -v[224:225]
	v_fma_f64 v[14:15], v[152:153], v[112:113], -v[14:15]
	v_fma_f64 v[16:17], v[160:161], v[128:129], -v[16:17]
	v_accvgpr_write_b32 a142, v10
	v_add_f64 v[10:11], v[8:9], v[2:3]
	v_mul_f64 v[8:9], v[86:87], s[44:45]
	v_add_f64 v[2:3], v[14:15], v[16:17]
	v_accvgpr_write_b32 a185, v9
	v_accvgpr_write_b32 a184, v8
	v_fma_f64 v[8:9], s[24:25], v[2:3], v[8:9]
	v_add_f64 v[84:85], v[14:15], -v[16:17]
	v_add_f64 v[146:147], v[8:9], v[0:1]
	v_mul_f64 v[0:1], v[84:85], s[44:45]
	v_add_f64 v[8:9], v[222:223], v[224:225]
	v_accvgpr_write_b32 a187, v1
	v_accvgpr_write_b32 a186, v0
	v_fma_f64 v[0:1], v[8:9], s[24:25], -v[0:1]
	v_add_f64 v[148:149], v[0:1], v[10:11]
	v_mul_f64 v[0:1], v[168:169], s[28:29]
	v_accvgpr_write_b32 a189, v1
	v_mul_f64 v[10:11], v[170:171], s[36:37]
	v_accvgpr_write_b32 a188, v0
	v_fma_f64 v[0:1], s[14:15], v[200:201], v[0:1]
	v_accvgpr_write_b32 a191, v11
	v_add_f64 v[0:1], v[164:165], v[0:1]
	v_accvgpr_write_b32 a190, v10
	v_fma_f64 v[10:11], s[16:17], v[202:203], v[10:11]
	v_accvgpr_write_b32 a139, v15
	v_add_f64 v[0:1], v[10:11], v[0:1]
	v_mul_f64 v[10:11], v[172:173], s[28:29]
	v_accvgpr_write_b32 a138, v14
	v_accvgpr_write_b32 a197, v11
	v_mul_f64 v[14:15], v[174:175], s[36:37]
	v_accvgpr_write_b32 a196, v10
	v_fma_f64 v[10:11], v[198:199], s[14:15], -v[10:11]
	v_accvgpr_write_b32 a199, v15
	v_add_f64 v[10:11], v[166:167], v[10:11]
	v_accvgpr_write_b32 a198, v14
	v_fma_f64 v[14:15], v[248:249], s[16:17], -v[14:15]
	v_add_f64 v[10:11], v[14:15], v[10:11]
	v_mul_f64 v[14:15], v[178:179], s[40:41]
	v_accvgpr_write_b32 a193, v15
	v_accvgpr_write_b32 a192, v14
	v_fma_f64 v[14:15], s[20:21], v[250:251], v[14:15]
	v_add_f64 v[0:1], v[14:15], v[0:1]
	v_mul_f64 v[14:15], v[176:177], s[40:41]
	v_accvgpr_write_b32 a203, v15
	v_accvgpr_write_b32 a202, v14
	v_fma_f64 v[14:15], v[252:253], s[20:21], -v[14:15]
	v_add_f64 v[10:11], v[14:15], v[10:11]
	v_mul_f64 v[14:15], v[182:183], s[44:45]
	v_accvgpr_write_b32 a195, v15
	v_accvgpr_write_b32 a194, v14
	v_fma_f64 v[14:15], s[24:25], v[254:255], v[14:15]
	v_add_f64 v[0:1], v[14:15], v[0:1]
	v_mul_f64 v[14:15], v[180:181], s[44:45]
	v_accvgpr_write_b32 a207, v15
	;; [unrolled: 10-line block ×6, first 2 shown]
	v_accvgpr_write_b32 a218, v0
	v_fma_f64 v[0:1], v[8:9], s[10:11], -v[0:1]
	v_add_f64 v[152:153], v[0:1], v[10:11]
	v_mul_f64 v[0:1], v[168:169], s[30:31]
	v_accvgpr_write_b32 a221, v1
	v_mul_f64 v[10:11], v[170:171], s[40:41]
	v_accvgpr_write_b32 a220, v0
	v_fma_f64 v[0:1], s[12:13], v[200:201], v[0:1]
	v_accvgpr_write_b32 a223, v11
	v_add_f64 v[0:1], v[164:165], v[0:1]
	v_accvgpr_write_b32 a222, v10
	v_fma_f64 v[10:11], s[20:21], v[202:203], v[10:11]
	v_add_f64 v[0:1], v[10:11], v[0:1]
	v_mul_f64 v[10:11], v[172:173], s[30:31]
	v_accvgpr_write_b32 a235, v11
	v_mul_f64 v[14:15], v[174:175], s[40:41]
	v_accvgpr_write_b32 a234, v10
	v_fma_f64 v[10:11], v[198:199], s[12:13], -v[10:11]
	v_accvgpr_write_b32 a237, v15
	v_add_f64 v[10:11], v[166:167], v[10:11]
	v_accvgpr_write_b32 a236, v14
	v_fma_f64 v[14:15], v[248:249], s[20:21], -v[14:15]
	v_add_f64 v[10:11], v[14:15], v[10:11]
	v_mul_f64 v[14:15], v[178:179], s[56:57]
	v_accvgpr_write_b32 a225, v15
	v_accvgpr_write_b32 a224, v14
	v_fma_f64 v[14:15], s[24:25], v[250:251], v[14:15]
	v_add_f64 v[0:1], v[14:15], v[0:1]
	v_mul_f64 v[14:15], v[176:177], s[56:57]
	v_accvgpr_write_b32 a241, v15
	v_accvgpr_write_b32 a240, v14
	v_fma_f64 v[14:15], v[252:253], s[24:25], -v[14:15]
	v_add_f64 v[10:11], v[14:15], v[10:11]
	v_mul_f64 v[14:15], v[182:183], s[52:53]
	v_accvgpr_write_b32 a227, v15
	v_accvgpr_write_b32 a226, v14
	v_fma_f64 v[14:15], s[18:19], v[254:255], v[14:15]
	v_add_f64 v[0:1], v[14:15], v[0:1]
	v_mul_f64 v[14:15], v[180:181], s[52:53]
	v_accvgpr_write_b32 a243, v15
	;; [unrolled: 10-line block ×6, first 2 shown]
	v_accvgpr_write_b32 a250, v0
	v_fma_f64 v[0:1], v[8:9], s[22:23], -v[0:1]
	v_add_f64 v[156:157], v[0:1], v[10:11]
	v_mul_f64 v[0:1], v[168:169], s[36:37]
	v_accvgpr_write_b32 a253, v1
	v_mul_f64 v[10:11], v[170:171], s[44:45]
	v_accvgpr_write_b32 a252, v0
	v_fma_f64 v[0:1], s[16:17], v[200:201], v[0:1]
	v_accvgpr_write_b32 a255, v11
	v_add_f64 v[0:1], v[164:165], v[0:1]
	v_accvgpr_write_b32 a254, v10
	v_fma_f64 v[10:11], s[24:25], v[202:203], v[10:11]
	v_add_f64 v[0:1], v[10:11], v[0:1]
	v_mul_f64 v[10:11], v[172:173], s[36:37]
	v_accvgpr_write_b32 a23, v11
	v_mul_f64 v[14:15], v[174:175], s[44:45]
	v_accvgpr_write_b32 a22, v10
	v_fma_f64 v[10:11], v[198:199], s[16:17], -v[10:11]
	v_accvgpr_write_b32 a27, v15
	v_add_f64 v[10:11], v[166:167], v[10:11]
	v_accvgpr_write_b32 a26, v14
	v_fma_f64 v[14:15], v[248:249], s[24:25], -v[14:15]
	v_add_f64 v[10:11], v[14:15], v[10:11]
	v_mul_f64 v[14:15], v[178:179], s[52:53]
	v_accvgpr_write_b32 a0, v14
	v_accvgpr_write_b32 a1, v15
	v_fma_f64 v[14:15], s[18:19], v[250:251], v[14:15]
	v_add_f64 v[0:1], v[14:15], v[0:1]
	v_mul_f64 v[14:15], v[176:177], s[52:53]
	v_accvgpr_write_b32 a29, v15
	v_accvgpr_write_b32 a28, v14
	v_fma_f64 v[14:15], v[252:253], s[18:19], -v[14:15]
	v_add_f64 v[10:11], v[14:15], v[10:11]
	v_mul_f64 v[14:15], v[182:183], s[48:49]
	v_accvgpr_write_b32 a21, v15
	v_accvgpr_write_b32 a20, v14
	v_fma_f64 v[14:15], s[10:11], v[254:255], v[14:15]
	v_add_f64 v[0:1], v[14:15], v[0:1]
	v_mul_f64 v[14:15], v[180:181], s[48:49]
	v_accvgpr_write_b32 a33, v15
	;; [unrolled: 10-line block ×6, first 2 shown]
	v_accvgpr_write_b32 a141, v17
	v_accvgpr_write_b32 a14, v0
	v_fma_f64 v[0:1], v[8:9], s[14:15], -v[0:1]
	v_accvgpr_write_b32 a140, v16
	v_add_f64 v[16:17], v[0:1], v[10:11]
	v_mul_f64 v[0:1], v[168:169], s[38:39]
	v_accvgpr_write_b32 a5, v1
	v_mul_f64 v[10:11], v[170:171], s[54:55]
	v_accvgpr_write_b32 a56, v68
	v_accvgpr_write_b32 a4, v0
	v_fma_f64 v[0:1], s[18:19], v[200:201], v[0:1]
	v_accvgpr_write_b32 a6, v10
	v_accvgpr_write_b32 a57, v69
	;; [unrolled: 1-line block ×4, first 2 shown]
	v_add_f64 v[0:1], v[164:165], v[0:1]
	v_accvgpr_write_b32 a7, v11
	v_fma_f64 v[10:11], s[22:23], v[202:203], v[10:11]
	v_mul_f64 v[70:71], v[172:173], s[38:39]
	v_accvgpr_write_b32 a123, v17
	v_add_f64 v[0:1], v[10:11], v[0:1]
	v_fma_f64 v[10:11], v[198:199], s[18:19], -v[70:71]
	v_mul_f64 v[238:239], v[174:175], s[54:55]
	v_accvgpr_write_b32 a64, v88
	v_accvgpr_write_b32 a122, v16
	;; [unrolled: 1-line block ×4, first 2 shown]
	v_add_f64 v[10:11], v[166:167], v[10:11]
	v_fma_f64 v[16:17], v[248:249], s[22:23], -v[238:239]
	v_mul_f64 v[62:63], v[178:179], s[50:51]
	v_accvgpr_write_b32 a65, v89
	v_accvgpr_write_b32 a66, v90
	;; [unrolled: 1-line block ×3, first 2 shown]
	v_add_f64 v[10:11], v[16:17], v[10:11]
	v_fma_f64 v[16:17], s[14:15], v[250:251], v[62:63]
	v_mul_f64 v[90:91], v[176:177], s[50:51]
	v_accvgpr_write_b32 a68, v92
	v_add_f64 v[0:1], v[16:17], v[0:1]
	v_fma_f64 v[16:17], v[252:253], s[14:15], -v[90:91]
	v_mul_f64 v[68:69], v[182:183], s[30:31]
	v_accvgpr_write_b32 a69, v93
	v_accvgpr_write_b32 a70, v94
	;; [unrolled: 1-line block ×3, first 2 shown]
	v_add_f64 v[10:11], v[16:17], v[10:11]
	v_fma_f64 v[16:17], s[12:13], v[254:255], v[68:69]
	v_mul_f64 v[94:95], v[180:181], s[30:31]
	v_add_f64 v[16:17], v[16:17], v[0:1]
	v_fma_f64 v[0:1], v[206:207], s[12:13], -v[94:95]
	v_accvgpr_write_b32 a72, v96
	v_accvgpr_write_b32 a147, v19
	v_add_f64 v[10:11], v[0:1], v[10:11]
	v_mul_f64 v[0:1], v[186:187], s[44:45]
	v_accvgpr_write_b32 a73, v97
	v_accvgpr_write_b32 a74, v98
	;; [unrolled: 1-line block ×4, first 2 shown]
	v_fma_f64 v[18:19], s[24:25], v[240:241], v[0:1]
	v_mul_f64 v[98:99], v[184:185], s[44:45]
	v_add_f64 v[16:17], v[18:19], v[16:17]
	v_fma_f64 v[18:19], v[242:243], s[24:25], -v[98:99]
	v_mul_f64 v[88:89], v[6:7], s[58:59]
	v_add_f64 v[10:11], v[18:19], v[10:11]
	v_fma_f64 v[18:19], s[16:17], v[192:193], v[88:89]
	v_mul_f64 v[188:189], v[4:5], s[58:59]
	v_accvgpr_write_b32 a76, v100
	v_add_f64 v[16:17], v[18:19], v[16:17]
	v_fma_f64 v[18:19], v[194:195], s[16:17], -v[188:189]
	v_mul_f64 v[92:93], v[50:51], s[26:27]
	v_accvgpr_write_b32 a77, v101
	v_accvgpr_write_b32 a78, v102
	;; [unrolled: 1-line block ×3, first 2 shown]
	v_add_f64 v[10:11], v[18:19], v[10:11]
	v_fma_f64 v[18:19], s[10:11], v[246:247], v[92:93]
	v_mul_f64 v[100:101], v[12:13], s[26:27]
	v_add_f64 v[16:17], v[18:19], v[16:17]
	v_fma_f64 v[18:19], v[196:197], s[10:11], -v[100:101]
	v_mul_f64 v[96:97], v[86:87], s[40:41]
	v_add_f64 v[10:11], v[18:19], v[10:11]
	v_fma_f64 v[18:19], s[20:21], v[2:3], v[96:97]
	v_mul_f64 v[102:103], v[84:85], s[40:41]
	v_accvgpr_write_b32 a80, v104
	v_add_f64 v[14:15], v[18:19], v[16:17]
	v_fma_f64 v[16:17], v[8:9], s[20:21], -v[102:103]
	v_accvgpr_write_b32 a81, v105
	v_accvgpr_write_b32 a82, v106
	;; [unrolled: 1-line block ×3, first 2 shown]
	v_add_f64 v[16:17], v[16:17], v[10:11]
	v_mul_f64 v[104:105], v[168:169], s[40:41]
	v_accvgpr_write_b32 a88, v112
	v_accvgpr_write_b32 a127, v17
	v_fma_f64 v[10:11], s[20:21], v[200:201], v[104:105]
	v_mul_f64 v[106:107], v[170:171], s[52:53]
	v_accvgpr_write_b32 a89, v113
	v_accvgpr_write_b32 a90, v114
	;; [unrolled: 1-line block ×6, first 2 shown]
	v_add_f64 v[10:11], v[164:165], v[10:11]
	v_fma_f64 v[16:17], s[18:19], v[202:203], v[106:107]
	v_mul_f64 v[112:113], v[172:173], s[40:41]
	v_accvgpr_write_b32 a84, v108
	v_add_f64 v[10:11], v[16:17], v[10:11]
	v_fma_f64 v[16:17], v[198:199], s[20:21], -v[112:113]
	v_mul_f64 v[190:191], v[174:175], s[52:53]
	v_accvgpr_write_b32 a92, v116
	v_accvgpr_write_b32 a85, v109
	v_accvgpr_write_b32 a86, v110
	v_accvgpr_write_b32 a87, v111
	v_add_f64 v[16:17], v[166:167], v[16:17]
	v_fma_f64 v[18:19], v[248:249], s[18:19], -v[190:191]
	v_mul_f64 v[108:109], v[178:179], s[26:27]
	v_accvgpr_write_b32 a93, v117
	v_accvgpr_write_b32 a94, v118
	v_accvgpr_write_b32 a95, v119
	v_add_f64 v[16:17], v[18:19], v[16:17]
	v_fma_f64 v[18:19], s[10:11], v[250:251], v[108:109]
	v_mul_f64 v[118:119], v[176:177], s[26:27]
	v_accvgpr_write_b32 a96, v120
	v_add_f64 v[10:11], v[18:19], v[10:11]
	v_fma_f64 v[18:19], v[252:253], s[10:11], -v[118:119]
	v_mul_f64 v[110:111], v[182:183], s[42:43]
	v_accvgpr_write_b32 a97, v121
	v_accvgpr_write_b32 a98, v122
	v_accvgpr_write_b32 a99, v123
	v_add_f64 v[16:17], v[18:19], v[16:17]
	v_fma_f64 v[18:19], s[22:23], v[254:255], v[110:111]
	v_mul_f64 v[122:123], v[180:181], s[42:43]
	v_accvgpr_write_b32 a100, v124
	;; [unrolled: 10-line block ×3, first 2 shown]
	v_add_f64 v[10:11], v[18:19], v[10:11]
	v_fma_f64 v[18:19], v[242:243], s[16:17], -v[126:127]
	v_mul_f64 v[116:117], v[6:7], s[28:29]
	v_accvgpr_write_b32 a105, v129
	v_accvgpr_write_b32 a106, v130
	;; [unrolled: 1-line block ×3, first 2 shown]
	v_add_f64 v[16:17], v[18:19], v[16:17]
	v_fma_f64 v[18:19], s[14:15], v[192:193], v[116:117]
	v_mul_f64 v[128:129], v[4:5], s[28:29]
	v_add_f64 v[10:11], v[18:19], v[10:11]
	v_fma_f64 v[18:19], v[194:195], s[14:15], -v[128:129]
	v_mul_f64 v[120:121], v[50:51], s[44:45]
	v_add_f64 v[16:17], v[18:19], v[16:17]
	v_fma_f64 v[18:19], s[24:25], v[246:247], v[120:121]
	v_mul_f64 v[130:131], v[12:13], s[44:45]
	v_add_f64 v[10:11], v[18:19], v[10:11]
	v_fma_f64 v[18:19], v[196:197], s[24:25], -v[130:131]
	v_mul_f64 v[124:125], v[86:87], s[46:47]
	v_add_f64 v[16:17], v[18:19], v[16:17]
	v_fma_f64 v[18:19], s[12:13], v[2:3], v[124:125]
	v_mul_f64 v[132:133], v[84:85], s[46:47]
	v_add_f64 v[14:15], v[18:19], v[10:11]
	v_fma_f64 v[10:11], v[8:9], s[12:13], -v[132:133]
	v_add_f64 v[16:17], v[10:11], v[16:17]
	v_accvgpr_write_b32 a131, v17
	v_mul_f64 v[134:135], v[168:169], s[42:43]
	v_accvgpr_write_b32 a151, v23
	v_accvgpr_write_b32 a130, v16
	;; [unrolled: 1-line block ×4, first 2 shown]
	v_fma_f64 v[10:11], s[22:23], v[200:201], v[134:135]
	v_mul_f64 v[16:17], v[170:171], s[46:47]
	v_accvgpr_write_b32 a150, v22
	v_add_f64 v[10:11], v[164:165], v[10:11]
	v_fma_f64 v[18:19], s[12:13], v[202:203], v[16:17]
	v_mul_f64 v[22:23], v[172:173], s[42:43]
	v_accvgpr_write_b32 a149, v21
	v_add_f64 v[10:11], v[18:19], v[10:11]
	v_fma_f64 v[18:19], v[198:199], s[22:23], -v[22:23]
	v_mul_f64 v[26:27], v[174:175], s[46:47]
	v_accvgpr_write_b32 a148, v20
	v_add_f64 v[18:19], v[166:167], v[18:19]
	v_fma_f64 v[20:21], v[248:249], s[12:13], -v[26:27]
	v_accvgpr_write_b32 a163, v25
	v_add_f64 v[20:21], v[20:21], v[18:19]
	v_mul_f64 v[18:19], v[178:179], s[36:37]
	v_accvgpr_write_b32 a162, v24
	v_fma_f64 v[24:25], s[16:17], v[250:251], v[18:19]
	v_mul_f64 v[136:137], v[176:177], s[36:37]
	v_add_f64 v[10:11], v[24:25], v[10:11]
	v_fma_f64 v[24:25], v[252:253], s[16:17], -v[136:137]
	v_add_f64 v[24:25], v[24:25], v[20:21]
	v_mul_f64 v[20:21], v[182:183], s[60:61]
	v_fma_f64 v[28:29], s[20:21], v[254:255], v[20:21]
	v_mul_f64 v[30:31], v[180:181], s[60:61]
	v_add_f64 v[10:11], v[28:29], v[10:11]
	v_fma_f64 v[28:29], v[206:207], s[20:21], -v[30:31]
	v_accvgpr_write_b32 a133, v33
	v_add_f64 v[28:29], v[28:29], v[24:25]
	v_mul_f64 v[24:25], v[186:187], s[26:27]
	v_accvgpr_write_b32 a132, v32
	v_fma_f64 v[32:33], s[10:11], v[240:241], v[24:25]
	v_add_f64 v[10:11], v[32:33], v[10:11]
	v_mul_f64 v[32:33], v[184:185], s[26:27]
	v_fma_f64 v[34:35], v[242:243], s[10:11], -v[32:33]
	v_add_f64 v[138:139], v[34:35], v[28:29]
	v_mul_f64 v[28:29], v[6:7], s[44:45]
	v_fma_f64 v[34:35], s[24:25], v[192:193], v[28:29]
	v_add_f64 v[10:11], v[34:35], v[10:11]
	v_mul_f64 v[34:35], v[4:5], s[44:45]
	v_fma_f64 v[140:141], v[194:195], s[24:25], -v[34:35]
	v_add_f64 v[142:143], v[140:141], v[138:139]
	v_mul_f64 v[138:139], v[50:51], s[50:51]
	;; [unrolled: 6-line block ×3, first 2 shown]
	v_fma_f64 v[142:143], s[18:19], v[2:3], v[10:11]
	v_add_f64 v[160:161], v[142:143], v[160:161]
	v_mul_f64 v[142:143], v[84:85], s[38:39]
	v_fma_f64 v[144:145], v[8:9], s[18:19], -v[142:143]
	v_add_f64 v[162:163], v[144:145], v[162:163]
	s_and_saveexec_b64 s[34:35], s[0:1]
	s_cbranch_execz .LBB0_5
; %bb.4:
	v_mul_f64 v[144:145], v[198:199], s[24:25]
	v_accvgpr_write_b32 a108, v146
	v_accvgpr_write_b32 a12, v38
	;; [unrolled: 1-line block ×5, first 2 shown]
	v_fma_f64 v[146:147], s[56:57], v[172:173], v[144:145]
	v_accvgpr_write_b32 a13, v39
	v_mul_f64 v[38:39], v[248:249], s[10:11]
	v_accvgpr_write_b32 a42, v48
	v_add_f64 v[146:147], v[166:167], v[146:147]
	v_accvgpr_write_b32 a43, v49
	v_fma_f64 v[48:49], s[26:27], v[174:175], v[38:39]
	v_add_f64 v[48:49], v[48:49], v[146:147]
	v_mul_f64 v[146:147], v[252:253], s[22:23]
	v_fma_f64 v[148:149], s[54:55], v[176:177], v[146:147]
	v_add_f64 v[48:49], v[148:149], v[48:49]
	v_mul_f64 v[148:149], v[206:207], s[14:15]
	v_accvgpr_write_b32 a112, v150
	v_accvgpr_write_b32 a113, v151
	;; [unrolled: 1-line block ×4, first 2 shown]
	v_fma_f64 v[150:151], s[28:29], v[180:181], v[148:149]
	v_add_f64 v[48:49], v[150:151], v[48:49]
	v_mul_f64 v[150:151], v[242:243], s[20:21]
	v_fma_f64 v[152:153], s[60:61], v[184:185], v[150:151]
	v_add_f64 v[48:49], v[152:153], v[48:49]
	v_mul_f64 v[152:153], v[194:195], s[12:13]
	v_accvgpr_write_b32 a116, v154
	v_accvgpr_write_b32 a117, v155
	;; [unrolled: 1-line block ×4, first 2 shown]
	v_fma_f64 v[154:155], s[30:31], v[4:5], v[152:153]
	v_add_f64 v[48:49], v[154:155], v[48:49]
	v_mul_f64 v[154:155], v[196:197], s[18:19]
	v_accvgpr_write_b32 a8, v60
	v_fmac_f64_e32 v[144:145], s[44:45], v[172:173]
	v_fma_f64 v[14:15], s[52:53], v[12:13], v[154:155]
	v_accvgpr_write_b32 a9, v61
	v_mul_f64 v[60:61], v[168:169], s[44:45]
	v_fmac_f64_e32 v[152:153], s[46:47], v[4:5]
	v_fmac_f64_e32 v[38:39], s[48:49], v[174:175]
	v_add_f64 v[4:5], v[166:167], v[144:145]
	v_add_f64 v[14:15], v[14:15], v[48:49]
	v_mul_f64 v[48:49], v[170:171], s[48:49]
	v_fma_f64 v[168:169], s[24:25], v[200:201], v[60:61]
	v_add_f64 v[4:5], v[38:39], v[4:5]
	v_fma_f64 v[38:39], v[200:201], s[24:25], -v[60:61]
	v_add_f64 v[168:169], v[164:165], v[168:169]
	v_fma_f64 v[170:171], s[10:11], v[202:203], v[48:49]
	v_mul_f64 v[178:179], v[178:179], s[42:43]
	v_fmac_f64_e32 v[154:155], s[38:39], v[12:13]
	v_fma_f64 v[12:13], v[202:203], s[10:11], -v[48:49]
	v_add_f64 v[38:39], v[164:165], v[38:39]
	v_add_f64 v[168:169], v[170:171], v[168:169]
	v_fma_f64 v[170:171], s[22:23], v[250:251], v[178:179]
	v_mul_f64 v[182:183], v[182:183], s[50:51]
	v_add_f64 v[12:13], v[12:13], v[38:39]
	v_fma_f64 v[38:39], v[250:251], s[22:23], -v[178:179]
	v_add_f64 v[168:169], v[170:171], v[168:169]
	v_fma_f64 v[170:171], s[14:15], v[254:255], v[182:183]
	v_mul_f64 v[186:187], v[186:187], s[40:41]
	v_fmac_f64_e32 v[146:147], s[42:43], v[176:177]
	v_add_f64 v[12:13], v[38:39], v[12:13]
	v_fma_f64 v[38:39], v[254:255], s[14:15], -v[182:183]
	v_add_f64 v[168:169], v[170:171], v[168:169]
	v_fma_f64 v[170:171], s[20:21], v[240:241], v[186:187]
	v_mul_f64 v[6:7], v[6:7], s[46:47]
	v_fmac_f64_e32 v[148:149], s[50:51], v[180:181]
	v_add_f64 v[4:5], v[146:147], v[4:5]
	v_add_f64 v[12:13], v[38:39], v[12:13]
	v_fma_f64 v[38:39], v[240:241], s[20:21], -v[186:187]
	v_add_f64 v[168:169], v[170:171], v[168:169]
	v_fma_f64 v[170:171], s[12:13], v[192:193], v[6:7]
	v_mul_f64 v[50:51], v[50:51], s[38:39]
	v_fmac_f64_e32 v[150:151], s[40:41], v[184:185]
	v_add_f64 v[4:5], v[148:149], v[4:5]
	v_add_f64 v[12:13], v[38:39], v[12:13]
	v_fma_f64 v[6:7], v[192:193], s[12:13], -v[6:7]
	v_mul_f64 v[156:157], v[8:9], s[16:17]
	v_accvgpr_write_b32 a10, v158
	v_add_f64 v[4:5], v[150:151], v[4:5]
	v_add_f64 v[6:7], v[6:7], v[12:13]
	v_fma_f64 v[12:13], v[246:247], s[18:19], -v[50:51]
	v_add_f64 v[168:169], v[170:171], v[168:169]
	v_fma_f64 v[170:171], s[18:19], v[246:247], v[50:51]
	v_accvgpr_write_b32 a11, v159
	v_fma_f64 v[158:159], s[36:37], v[84:85], v[156:157]
	v_add_f64 v[4:5], v[152:153], v[4:5]
	v_add_f64 v[6:7], v[12:13], v[6:7]
	v_mul_f64 v[12:13], v[194:195], s[24:25]
	v_add_f64 v[168:169], v[170:171], v[168:169]
	v_add_f64 v[170:171], v[158:159], v[14:15]
	v_mul_f64 v[14:15], v[86:87], s[58:59]
	v_fmac_f64_e32 v[156:157], s[58:59], v[84:85]
	v_add_f64 v[4:5], v[154:155], v[4:5]
	v_add_f64 v[12:13], v[34:35], v[12:13]
	v_mul_f64 v[34:35], v[248:249], s[12:13]
	v_fma_f64 v[86:87], s[16:17], v[2:3], v[14:15]
	v_add_f64 v[174:175], v[156:157], v[4:5]
	v_fma_f64 v[4:5], v[2:3], s[16:17], -v[14:15]
	v_mul_f64 v[14:15], v[242:243], s[10:11]
	v_add_f64 v[26:27], v[26:27], v[34:35]
	v_mul_f64 v[34:35], v[198:199], s[22:23]
	v_add_f64 v[14:15], v[32:33], v[14:15]
	;; [unrolled: 2-line block ×3, first 2 shown]
	v_add_f64 v[30:31], v[30:31], v[32:33]
	v_mul_f64 v[32:33], v[252:253], s[16:17]
	v_add_f64 v[22:23], v[166:167], v[22:23]
	v_add_f64 v[32:33], v[136:137], v[32:33]
	;; [unrolled: 1-line block ×6, first 2 shown]
	v_mul_f64 v[22:23], v[240:241], s[10:11]
	v_add_f64 v[22:23], v[22:23], -v[24:25]
	v_mul_f64 v[24:25], v[254:255], s[20:21]
	v_add_f64 v[20:21], v[24:25], -v[20:21]
	;; [unrolled: 2-line block ×5, first 2 shown]
	v_add_f64 v[24:25], v[164:165], v[24:25]
	v_add_f64 v[172:173], v[4:5], v[6:7]
	v_mul_f64 v[6:7], v[196:197], s[14:15]
	v_add_f64 v[16:17], v[16:17], v[24:25]
	v_add_f64 v[6:7], v[140:141], v[6:7]
	;; [unrolled: 1-line block ×5, first 2 shown]
	v_mul_f64 v[12:13], v[2:3], s[18:19]
	v_mul_f64 v[14:15], v[192:193], s[24:25]
	v_add_f64 v[16:17], v[20:21], v[16:17]
	v_mul_f64 v[20:21], v[198:199], s[20:21]
	v_add_f64 v[10:11], v[12:13], -v[10:11]
	v_mul_f64 v[12:13], v[246:247], s[14:15]
	v_add_f64 v[14:15], v[14:15], -v[28:29]
	v_add_f64 v[16:17], v[22:23], v[16:17]
	v_mul_f64 v[18:19], v[248:249], s[18:19]
	v_add_f64 v[20:21], v[112:113], v[20:21]
	v_mul_f64 v[24:25], v[200:201], s[20:21]
	v_add_f64 v[12:13], v[12:13], -v[138:139]
	v_add_f64 v[14:15], v[14:15], v[16:17]
	v_mul_f64 v[16:17], v[252:253], s[10:11]
	v_add_f64 v[18:19], v[190:191], v[18:19]
	v_add_f64 v[20:21], v[166:167], v[20:21]
	v_mul_f64 v[22:23], v[202:203], s[18:19]
	v_add_f64 v[24:25], v[24:25], -v[104:105]
	v_add_f64 v[12:13], v[12:13], v[14:15]
	v_mul_f64 v[14:15], v[206:207], s[22:23]
	v_add_f64 v[16:17], v[118:119], v[16:17]
	v_add_f64 v[18:19], v[18:19], v[20:21]
	v_mul_f64 v[20:21], v[250:251], s[10:11]
	v_add_f64 v[22:23], v[22:23], -v[106:107]
	v_add_f64 v[24:25], v[164:165], v[24:25]
	v_add_f64 v[14:15], v[122:123], v[14:15]
	;; [unrolled: 1-line block ×3, first 2 shown]
	v_mul_f64 v[18:19], v[254:255], s[22:23]
	v_add_f64 v[20:21], v[20:21], -v[108:109]
	v_add_f64 v[22:23], v[22:23], v[24:25]
	v_add_f64 v[176:177], v[10:11], v[12:13]
	v_mul_f64 v[12:13], v[242:243], s[16:17]
	v_add_f64 v[14:15], v[14:15], v[16:17]
	v_mul_f64 v[16:17], v[240:241], s[16:17]
	v_add_f64 v[18:19], v[18:19], -v[110:111]
	v_add_f64 v[20:21], v[20:21], v[22:23]
	v_mul_f64 v[10:11], v[194:195], s[14:15]
	v_add_f64 v[12:13], v[126:127], v[12:13]
	v_add_f64 v[16:17], v[16:17], -v[114:115]
	v_add_f64 v[18:19], v[18:19], v[20:21]
	v_mul_f64 v[20:21], v[198:199], s[18:19]
	v_mul_f64 v[4:5], v[8:9], s[18:19]
	v_add_f64 v[10:11], v[128:129], v[10:11]
	v_add_f64 v[12:13], v[12:13], v[14:15]
	v_mul_f64 v[14:15], v[192:193], s[14:15]
	v_add_f64 v[16:17], v[16:17], v[18:19]
	v_mul_f64 v[18:19], v[248:249], s[22:23]
	v_add_f64 v[20:21], v[70:71], v[20:21]
	v_add_f64 v[4:5], v[142:143], v[4:5]
	;; [unrolled: 1-line block ×3, first 2 shown]
	v_mul_f64 v[12:13], v[246:247], s[24:25]
	v_add_f64 v[14:15], v[14:15], -v[116:117]
	v_add_f64 v[18:19], v[238:239], v[18:19]
	v_add_f64 v[20:21], v[166:167], v[20:21]
	v_accvgpr_read_b32 v23, a7
	v_add_f64 v[178:179], v[4:5], v[6:7]
	v_mul_f64 v[6:7], v[196:197], s[24:25]
	v_add_f64 v[12:13], v[12:13], -v[120:121]
	v_add_f64 v[14:15], v[14:15], v[16:17]
	v_mul_f64 v[16:17], v[252:253], s[14:15]
	v_add_f64 v[18:19], v[18:19], v[20:21]
	v_mul_f64 v[20:21], v[202:203], s[22:23]
	v_accvgpr_read_b32 v22, a6
	v_accvgpr_read_b32 v25, a5
	v_add_f64 v[6:7], v[130:131], v[6:7]
	v_add_f64 v[12:13], v[12:13], v[14:15]
	v_mul_f64 v[14:15], v[206:207], s[12:13]
	v_add_f64 v[16:17], v[90:91], v[16:17]
	v_add_f64 v[20:21], v[20:21], -v[22:23]
	v_mul_f64 v[22:23], v[200:201], s[18:19]
	v_accvgpr_read_b32 v24, a4
	v_add_f64 v[6:7], v[6:7], v[10:11]
	v_mul_f64 v[10:11], v[2:3], s[12:13]
	v_add_f64 v[14:15], v[94:95], v[14:15]
	v_add_f64 v[16:17], v[16:17], v[18:19]
	v_add_f64 v[22:23], v[22:23], -v[24:25]
	v_add_f64 v[10:11], v[10:11], -v[124:125]
	v_add_f64 v[14:15], v[14:15], v[16:17]
	v_mul_f64 v[16:17], v[240:241], s[24:25]
	v_mul_f64 v[18:19], v[250:251], s[14:15]
	v_add_f64 v[22:23], v[164:165], v[22:23]
	v_mul_f64 v[4:5], v[8:9], s[12:13]
	v_add_f64 v[180:181], v[10:11], v[12:13]
	v_mul_f64 v[12:13], v[242:243], s[24:25]
	v_add_f64 v[0:1], v[16:17], -v[0:1]
	v_mul_f64 v[16:17], v[254:255], s[12:13]
	v_add_f64 v[18:19], v[18:19], -v[62:63]
	v_add_f64 v[20:21], v[20:21], v[22:23]
	v_add_f64 v[4:5], v[132:133], v[4:5]
	v_mul_f64 v[10:11], v[194:195], s[16:17]
	v_add_f64 v[12:13], v[98:99], v[12:13]
	v_add_f64 v[16:17], v[16:17], -v[68:69]
	v_add_f64 v[18:19], v[18:19], v[20:21]
	v_add_f64 v[182:183], v[4:5], v[6:7]
	v_mul_f64 v[6:7], v[196:197], s[10:11]
	v_add_f64 v[10:11], v[188:189], v[10:11]
	v_add_f64 v[12:13], v[12:13], v[14:15]
	v_mul_f64 v[14:15], v[192:193], s[16:17]
	v_add_f64 v[16:17], v[16:17], v[18:19]
	v_mul_f64 v[4:5], v[8:9], s[20:21]
	v_add_f64 v[6:7], v[100:101], v[6:7]
	v_add_f64 v[10:11], v[10:11], v[12:13]
	v_mul_f64 v[12:13], v[246:247], s[10:11]
	v_add_f64 v[14:15], v[14:15], -v[88:89]
	v_add_f64 v[0:1], v[0:1], v[16:17]
	v_add_f64 v[4:5], v[102:103], v[4:5]
	;; [unrolled: 1-line block ×3, first 2 shown]
	v_mul_f64 v[10:11], v[2:3], s[20:21]
	v_add_f64 v[12:13], v[12:13], -v[92:93]
	v_add_f64 v[0:1], v[14:15], v[0:1]
	v_add_f64 v[10:11], v[10:11], -v[96:97]
	v_add_f64 v[0:1], v[12:13], v[0:1]
	v_add_f64 v[186:187], v[4:5], v[6:7]
	v_accvgpr_read_b32 v4, a14
	v_add_f64 v[184:185], v[10:11], v[0:1]
	v_mul_f64 v[0:1], v[8:9], s[14:15]
	v_accvgpr_read_b32 v5, a15
	v_accvgpr_read_b32 v6, a40
	v_add_f64 v[0:1], v[4:5], v[0:1]
	v_mul_f64 v[4:5], v[196:197], s[20:21]
	v_accvgpr_read_b32 v7, a41
	;; [unrolled: 4-line block ×8, first 2 shown]
	v_add_f64 v[18:19], v[20:21], v[18:19]
	v_add_f64 v[18:19], v[166:167], v[18:19]
	;; [unrolled: 1-line block ×7, first 2 shown]
	v_accvgpr_read_b32 v10, a34
	v_add_f64 v[4:5], v[4:5], v[6:7]
	v_mul_f64 v[6:7], v[2:3], s[14:15]
	v_accvgpr_read_b32 v11, a35
	v_accvgpr_read_b32 v12, a30
	v_add_f64 v[6:7], v[6:7], -v[10:11]
	v_mul_f64 v[10:11], v[246:247], s[20:21]
	v_accvgpr_read_b32 v13, a31
	v_accvgpr_read_b32 v15, a3
	v_add_f64 v[10:11], v[10:11], -v[12:13]
	v_mul_f64 v[12:13], v[192:193], s[22:23]
	v_accvgpr_read_b32 v14, a2
	v_accvgpr_read_b32 v16, a24
	v_add_f64 v[12:13], v[12:13], -v[14:15]
	v_mul_f64 v[14:15], v[240:241], s[12:13]
	v_accvgpr_read_b32 v17, a25
	v_accvgpr_read_b32 v18, a20
	v_add_f64 v[14:15], v[14:15], -v[16:17]
	v_mul_f64 v[16:17], v[254:255], s[10:11]
	v_accvgpr_read_b32 v19, a21
	v_accvgpr_read_b32 v21, a1
	v_add_f64 v[16:17], v[16:17], -v[18:19]
	v_mul_f64 v[18:19], v[250:251], s[18:19]
	v_accvgpr_read_b32 v20, a0
	v_accvgpr_read_b32 v22, a254
	v_add_f64 v[18:19], v[18:19], -v[20:21]
	v_mul_f64 v[20:21], v[202:203], s[24:25]
	v_accvgpr_read_b32 v23, a255
	v_accvgpr_read_b32 v24, a252
	v_add_f64 v[20:21], v[20:21], -v[22:23]
	v_mul_f64 v[22:23], v[200:201], s[16:17]
	v_accvgpr_read_b32 v25, a253
	v_add_f64 v[22:23], v[22:23], -v[24:25]
	v_add_f64 v[22:23], v[164:165], v[22:23]
	v_add_f64 v[20:21], v[20:21], v[22:23]
	;; [unrolled: 1-line block ×8, first 2 shown]
	v_accvgpr_read_b32 v4, a250
	v_add_f64 v[188:189], v[6:7], v[10:11]
	v_mul_f64 v[0:1], v[8:9], s[22:23]
	v_accvgpr_read_b32 v5, a251
	v_accvgpr_read_b32 v6, a248
	v_add_f64 v[0:1], v[4:5], v[0:1]
	v_mul_f64 v[4:5], v[196:197], s[16:17]
	v_accvgpr_read_b32 v7, a249
	;; [unrolled: 4-line block ×8, first 2 shown]
	v_add_f64 v[18:19], v[20:21], v[18:19]
	v_add_f64 v[18:19], v[166:167], v[18:19]
	;; [unrolled: 1-line block ×7, first 2 shown]
	v_accvgpr_read_b32 v30, a238
	v_add_f64 v[4:5], v[4:5], v[6:7]
	v_mul_f64 v[6:7], v[2:3], s[22:23]
	v_accvgpr_read_b32 v31, a239
	v_accvgpr_read_b32 v32, a232
	v_add_f64 v[30:31], v[6:7], -v[30:31]
	v_mul_f64 v[6:7], v[246:247], s[16:17]
	v_accvgpr_read_b32 v33, a233
	v_accvgpr_read_b32 v34, a230
	v_add_f64 v[6:7], v[6:7], -v[32:33]
	v_mul_f64 v[32:33], v[192:193], s[10:11]
	v_accvgpr_read_b32 v35, a231
	v_accvgpr_read_b32 v38, a228
	;; [unrolled: 1-line block ×3, first 2 shown]
	v_mul_f64 v[24:25], v[200:201], s[12:13]
	v_add_f64 v[32:33], v[32:33], -v[34:35]
	v_mul_f64 v[34:35], v[240:241], s[14:15]
	v_accvgpr_read_b32 v39, a229
	v_accvgpr_read_b32 v48, a226
	;; [unrolled: 1-line block ×4, first 2 shown]
	v_mul_f64 v[28:29], v[202:203], s[20:21]
	v_add_f64 v[34:35], v[34:35], -v[38:39]
	v_mul_f64 v[38:39], v[254:255], s[18:19]
	v_accvgpr_read_b32 v49, a227
	v_accvgpr_read_b32 v50, a224
	;; [unrolled: 1-line block ×3, first 2 shown]
	v_add_f64 v[24:25], v[24:25], -v[70:71]
	v_add_f64 v[38:39], v[38:39], -v[48:49]
	v_mul_f64 v[48:49], v[250:251], s[24:25]
	v_accvgpr_read_b32 v51, a225
	v_add_f64 v[28:29], v[28:29], -v[60:61]
	v_add_f64 v[24:25], v[164:165], v[24:25]
	v_add_f64 v[48:49], v[48:49], -v[50:51]
	v_add_f64 v[24:25], v[28:29], v[24:25]
	v_add_f64 v[24:25], v[48:49], v[24:25]
	;; [unrolled: 1-line block ×4, first 2 shown]
	v_accvgpr_read_b32 v100, a218
	v_add_f64 v[24:25], v[32:33], v[24:25]
	v_mul_f64 v[98:99], v[8:9], s[10:11]
	v_accvgpr_read_b32 v101, a219
	v_add_f64 v[24:25], v[6:7], v[24:25]
	v_add_f64 v[98:99], v[100:101], v[98:99]
	v_mul_f64 v[100:101], v[2:3], s[24:25]
	v_mul_f64 v[102:103], v[2:3], s[10:11]
	v_accvgpr_read_b32 v2, a216
	v_add_f64 v[6:7], v[0:1], v[4:5]
	v_add_f64 v[4:5], v[30:31], v[24:25]
	v_mul_f64 v[30:31], v[196:197], s[12:13]
	v_accvgpr_read_b32 v3, a217
	v_add_f64 v[2:3], v[2:3], v[30:31]
	v_accvgpr_read_b32 v30, a214
	v_mul_f64 v[94:95], v[194:195], s[18:19]
	v_accvgpr_read_b32 v31, a215
	v_add_f64 v[30:31], v[30:31], v[94:95]
	v_accvgpr_read_b32 v94, a210
	;; [unrolled: 4-line block ×3, first 2 shown]
	v_add_f64 v[168:169], v[86:87], v[168:169]
	v_mul_f64 v[86:87], v[206:207], s[24:25]
	v_accvgpr_read_b32 v95, a207
	v_add_f64 v[86:87], v[94:95], v[86:87]
	v_accvgpr_read_b32 v94, a202
	v_mul_f64 v[68:69], v[252:253], s[20:21]
	v_accvgpr_read_b32 v95, a203
	v_add_f64 v[68:69], v[94:95], v[68:69]
	v_accvgpr_read_b32 v94, a198
	;; [unrolled: 4-line block ×3, first 2 shown]
	v_mul_f64 v[22:23], v[198:199], s[14:15]
	v_accvgpr_read_b32 v95, a197
	v_add_f64 v[22:23], v[94:95], v[22:23]
	v_add_f64 v[22:23], v[166:167], v[22:23]
	;; [unrolled: 1-line block ×4, first 2 shown]
	v_accvgpr_read_b32 v68, a194
	v_mul_f64 v[84:85], v[254:255], s[24:25]
	v_accvgpr_read_b32 v69, a195
	v_add_f64 v[68:69], v[84:85], -v[68:69]
	v_accvgpr_read_b32 v84, a192
	v_mul_f64 v[62:63], v[250:251], s[20:21]
	v_accvgpr_read_b32 v85, a193
	v_add_f64 v[62:63], v[62:63], -v[84:85]
	;; [unrolled: 4-line block ×3, first 2 shown]
	v_accvgpr_read_b32 v84, a188
	v_mul_f64 v[16:17], v[200:201], s[14:15]
	v_accvgpr_read_b32 v85, a189
	v_add_f64 v[22:23], v[86:87], v[22:23]
	v_add_f64 v[16:17], v[16:17], -v[84:85]
	v_add_f64 v[22:23], v[90:91], v[22:23]
	v_accvgpr_read_b32 v26, a208
	v_add_f64 v[16:17], v[164:165], v[16:17]
	v_mul_f64 v[0:1], v[246:247], s[12:13]
	v_add_f64 v[22:23], v[30:31], v[22:23]
	v_accvgpr_read_b32 v27, a209
	v_accvgpr_read_b32 v30, a200
	v_add_f64 v[10:11], v[10:11], v[16:17]
	v_mul_f64 v[88:89], v[240:241], s[22:23]
	v_add_f64 v[0:1], v[0:1], -v[26:27]
	v_accvgpr_read_b32 v26, a204
	v_accvgpr_read_b32 v31, a201
	v_add_f64 v[10:11], v[62:63], v[10:11]
	v_mul_f64 v[92:93], v[192:193], s[18:19]
	v_accvgpr_read_b32 v27, a205
	v_add_f64 v[30:31], v[88:89], -v[30:31]
	v_add_f64 v[10:11], v[68:69], v[10:11]
	v_add_f64 v[26:27], v[92:93], -v[26:27]
	v_add_f64 v[10:11], v[30:31], v[10:11]
	v_add_f64 v[10:11], v[26:27], v[10:11]
	;; [unrolled: 1-line block ×3, first 2 shown]
	v_accvgpr_read_b32 v10, a186
	v_mul_f64 v[8:9], v[8:9], s[24:25]
	v_accvgpr_read_b32 v11, a187
	v_add_f64 v[8:9], v[10:11], v[8:9]
	v_accvgpr_read_b32 v10, a182
	v_mul_f64 v[24:25], v[196:197], s[22:23]
	v_accvgpr_read_b32 v11, a183
	v_add_f64 v[10:11], v[10:11], v[24:25]
	;; [unrolled: 4-line block ×4, first 2 shown]
	v_accvgpr_read_b32 v28, a158
	v_mul_f64 v[18:19], v[198:199], s[10:11]
	v_accvgpr_read_b32 v29, a159
	v_accvgpr_read_b32 v26, a166
	v_add_f64 v[18:19], v[28:29], v[18:19]
	v_mul_f64 v[60:61], v[252:253], s[12:13]
	v_accvgpr_read_b32 v27, a167
	v_add_f64 v[18:19], v[166:167], v[18:19]
	v_add_f64 v[2:3], v[2:3], v[22:23]
	v_accvgpr_read_b32 v22, a212
	v_add_f64 v[26:27], v[26:27], v[60:61]
	v_add_f64 v[12:13], v[12:13], v[18:19]
	v_accvgpr_read_b32 v23, a213
	v_add_f64 v[12:13], v[26:27], v[12:13]
	v_accvgpr_read_b32 v26, a160
	v_mul_f64 v[14:15], v[202:203], s[14:15]
	v_add_f64 v[22:23], v[102:103], -v[22:23]
	v_accvgpr_read_b32 v27, a161
	v_add_f64 v[0:1], v[22:23], v[0:1]
	v_accvgpr_read_b32 v22, a174
	v_add_f64 v[14:15], v[14:15], -v[26:27]
	v_accvgpr_read_b32 v26, a156
	v_mul_f64 v[20:21], v[200:201], s[10:11]
	v_mul_f64 v[38:39], v[242:243], s[18:19]
	v_accvgpr_read_b32 v23, a175
	v_accvgpr_read_b32 v27, a157
	;; [unrolled: 1-line block ×3, first 2 shown]
	v_add_f64 v[22:23], v[22:23], v[38:39]
	v_add_f64 v[12:13], v[24:25], v[12:13]
	v_accvgpr_read_b32 v24, a164
	v_add_f64 v[20:21], v[20:21], -v[26:27]
	v_mul_f64 v[50:51], v[250:251], s[12:13]
	v_mul_f64 v[32:33], v[194:195], s[20:21]
	v_accvgpr_read_b32 v17, a179
	v_add_f64 v[12:13], v[22:23], v[12:13]
	v_accvgpr_read_b32 v22, a168
	v_accvgpr_read_b32 v25, a165
	v_add_f64 v[20:21], v[164:165], v[20:21]
	v_mul_f64 v[70:71], v[254:255], s[16:17]
	v_add_f64 v[16:17], v[16:17], v[32:33]
	v_accvgpr_read_b32 v18, a172
	v_accvgpr_read_b32 v23, a169
	v_add_f64 v[24:25], v[50:51], -v[24:25]
	v_add_f64 v[14:15], v[14:15], v[20:21]
	v_mul_f64 v[48:49], v[240:241], s[18:19]
	v_add_f64 v[12:13], v[16:17], v[12:13]
	v_accvgpr_read_b32 v16, a176
	v_accvgpr_read_b32 v19, a173
	v_add_f64 v[22:23], v[70:71], -v[22:23]
	;; [unrolled: 6-line block ×4, first 2 shown]
	v_add_f64 v[14:15], v[18:19], v[14:15]
	v_accvgpr_read_b32 v9, a185
	v_add_f64 v[12:13], v[96:97], -v[12:13]
	v_add_f64 v[14:15], v[16:17], v[14:15]
	v_add_f64 v[8:9], v[100:101], -v[8:9]
	v_add_f64 v[12:13], v[12:13], v[14:15]
	v_add_f64 v[8:9], v[8:9], v[12:13]
	;; [unrolled: 1-line block ×18, first 2 shown]
	v_accvgpr_read_b32 v12, a12
	v_accvgpr_read_b32 v13, a13
	;; [unrolled: 1-line block ×3, first 2 shown]
	v_add_f64 v[12:13], v[164:165], v[12:13]
	v_accvgpr_read_b32 v17, a133
	v_add_f64 v[12:13], v[12:13], v[16:17]
	v_accvgpr_read_b32 v16, a42
	v_accvgpr_read_b32 v17, a43
	v_add_f64 v[12:13], v[12:13], v[16:17]
	v_accvgpr_read_b32 v17, a9
	;; [unrolled: 3-line block ×14, first 2 shown]
	v_accvgpr_read_b32 v149, a111
	v_accvgpr_read_b32 v153, a115
	;; [unrolled: 1-line block ×13, first 2 shown]
	v_add_f64 v[12:13], v[12:13], v[16:17]
	v_add_f64 v[2:3], v[98:99], v[2:3]
	ds_write_b128 v204, v[12:15]
	ds_write_b128 v204, v[8:11] offset:800
	ds_write_b128 v204, v[0:3] offset:1600
	;; [unrolled: 1-line block ×16, first 2 shown]
.LBB0_5:
	s_or_b64 exec, exec, s[34:35]
	v_lshl_add_u64 v[0:1], s[8:9], 0, v[204:205]
	s_mov_b64 s[8:9], 0x3520
	v_lshl_add_u64 v[14:15], v[0:1], 0, s[8:9]
	s_movk_i32 s8, 0x3000
	v_add_co_u32_e32 v6, vcc, s8, v0
	s_waitcnt lgkmcnt(0)
	s_nop 0
	v_addc_co_u32_e32 v7, vcc, 0, v1, vcc
	s_barrier
	global_load_dwordx4 v[6:9], v[6:7], off offset:1312
	ds_read_b128 v[2:5], v204
	ds_read_b128 v[164:167], v204 offset:12240
	s_movk_i32 s8, 0x4000
	s_mov_b32 s10, 0x134454ff
	s_mov_b32 s11, 0xbfee6f0e
	;; [unrolled: 1-line block ×13, first 2 shown]
	s_waitcnt vmcnt(0) lgkmcnt(1)
	v_mul_f64 v[10:11], v[4:5], v[8:9]
	v_mul_f64 v[12:13], v[2:3], v[8:9]
	v_fma_f64 v[10:11], v[2:3], v[6:7], -v[10:11]
	v_fmac_f64_e32 v[12:13], v[4:5], v[6:7]
	global_load_dwordx4 v[6:9], v[14:15], off offset:1360
	ds_read_b128 v[2:5], v204 offset:1360
	ds_write_b128 v204, v[10:13]
	s_waitcnt vmcnt(0) lgkmcnt(1)
	v_mul_f64 v[10:11], v[4:5], v[8:9]
	v_mul_f64 v[12:13], v[2:3], v[8:9]
	v_fma_f64 v[10:11], v[2:3], v[6:7], -v[10:11]
	v_fmac_f64_e32 v[12:13], v[4:5], v[6:7]
	global_load_dwordx4 v[6:9], v[14:15], off offset:2720
	ds_read_b128 v[2:5], v204 offset:2720
	ds_write_b128 v204, v[10:13] offset:1360
	s_waitcnt vmcnt(0) lgkmcnt(1)
	v_mul_f64 v[10:11], v[4:5], v[8:9]
	v_mul_f64 v[12:13], v[2:3], v[8:9]
	v_fma_f64 v[10:11], v[2:3], v[6:7], -v[10:11]
	v_fmac_f64_e32 v[12:13], v[4:5], v[6:7]
	global_load_dwordx4 v[6:9], v[14:15], off offset:4080
	ds_read_b128 v[2:5], v204 offset:4080
	v_add_co_u32_e32 v14, vcc, s8, v0
	ds_write_b128 v204, v[10:13] offset:2720
	s_nop 0
	v_addc_co_u32_e32 v15, vcc, 0, v1, vcc
	s_movk_i32 s8, 0x5000
	s_waitcnt vmcnt(0) lgkmcnt(1)
	v_mul_f64 v[10:11], v[4:5], v[8:9]
	v_mul_f64 v[12:13], v[2:3], v[8:9]
	v_fma_f64 v[10:11], v[2:3], v[6:7], -v[10:11]
	v_fmac_f64_e32 v[12:13], v[4:5], v[6:7]
	global_load_dwordx4 v[6:9], v[14:15], off offset:2656
	ds_read_b128 v[2:5], v204 offset:5440
	ds_write_b128 v204, v[10:13] offset:4080
	s_waitcnt vmcnt(0) lgkmcnt(1)
	v_mul_f64 v[10:11], v[4:5], v[8:9]
	v_mul_f64 v[12:13], v[2:3], v[8:9]
	v_fma_f64 v[10:11], v[2:3], v[6:7], -v[10:11]
	v_fmac_f64_e32 v[12:13], v[4:5], v[6:7]
	global_load_dwordx4 v[6:9], v[14:15], off offset:4016
	ds_read_b128 v[2:5], v204 offset:6800
	v_add_co_u32_e32 v14, vcc, s8, v0
	ds_write_b128 v204, v[10:13] offset:5440
	s_nop 0
	v_addc_co_u32_e32 v15, vcc, 0, v1, vcc
	s_movk_i32 s8, 0x6000
	v_add_co_u32_e32 v0, vcc, s8, v0
	s_mov_b32 s8, 0x4755a5e
	s_nop 0
	v_addc_co_u32_e32 v1, vcc, 0, v1, vcc
	s_mov_b32 s9, 0xbfe2cf23
	s_mov_b32 s16, s8
	s_waitcnt vmcnt(0) lgkmcnt(1)
	v_mul_f64 v[10:11], v[4:5], v[8:9]
	v_mul_f64 v[12:13], v[2:3], v[8:9]
	v_fma_f64 v[10:11], v[2:3], v[6:7], -v[10:11]
	v_fmac_f64_e32 v[12:13], v[4:5], v[6:7]
	global_load_dwordx4 v[6:9], v[14:15], off offset:1280
	ds_read_b128 v[2:5], v204 offset:8160
	ds_write_b128 v204, v[10:13] offset:6800
	s_waitcnt vmcnt(0) lgkmcnt(1)
	v_mul_f64 v[10:11], v[4:5], v[8:9]
	v_mul_f64 v[12:13], v[2:3], v[8:9]
	v_fma_f64 v[10:11], v[2:3], v[6:7], -v[10:11]
	v_fmac_f64_e32 v[12:13], v[4:5], v[6:7]
	global_load_dwordx4 v[6:9], v[14:15], off offset:2640
	ds_read_b128 v[2:5], v204 offset:9520
	ds_write_b128 v204, v[10:13] offset:8160
	;; [unrolled: 8-line block ×3, first 2 shown]
	s_waitcnt vmcnt(0) lgkmcnt(1)
	v_mul_f64 v[10:11], v[4:5], v[8:9]
	v_fma_f64 v[10:11], v[2:3], v[6:7], -v[10:11]
	v_mul_f64 v[12:13], v[2:3], v[8:9]
	global_load_dwordx4 v[0:3], v[0:1], off offset:1264
	v_fmac_f64_e32 v[12:13], v[4:5], v[6:7]
	ds_write_b128 v204, v[10:13] offset:10880
	s_waitcnt vmcnt(0)
	v_mul_f64 v[4:5], v[166:167], v[2:3]
	v_mul_f64 v[6:7], v[164:165], v[2:3]
	v_fma_f64 v[4:5], v[164:165], v[0:1], -v[4:5]
	v_fmac_f64_e32 v[6:7], v[166:167], v[0:1]
	ds_write_b128 v204, v[4:7] offset:12240
	s_waitcnt lgkmcnt(0)
	s_barrier
	ds_read_b128 v[164:167], v204
	ds_read_b128 v[168:171], v204 offset:1360
	ds_read_b128 v[0:3], v204 offset:2720
	;; [unrolled: 1-line block ×9, first 2 shown]
	s_waitcnt lgkmcnt(5)
	v_add_f64 v[60:61], v[0:1], -v[8:9]
	s_waitcnt lgkmcnt(3)
	v_add_f64 v[34:35], v[8:9], v[16:17]
	v_fma_f64 v[34:35], -0.5, v[34:35], v[164:165]
	s_waitcnt lgkmcnt(1)
	v_add_f64 v[38:39], v[2:3], -v[26:27]
	v_fma_f64 v[48:49], s[10:11], v[38:39], v[34:35]
	v_add_f64 v[50:51], v[10:11], -v[18:19]
	v_add_f64 v[62:63], v[24:25], -v[16:17]
	v_fmac_f64_e32 v[34:35], s[14:15], v[38:39]
	v_fmac_f64_e32 v[48:49], s[8:9], v[50:51]
	v_add_f64 v[60:61], v[60:61], v[62:63]
	v_fmac_f64_e32 v[34:35], s[16:17], v[50:51]
	v_fmac_f64_e32 v[48:49], s[12:13], v[60:61]
	;; [unrolled: 1-line block ×3, first 2 shown]
	v_add_f64 v[60:61], v[0:1], v[24:25]
	v_add_f64 v[32:33], v[164:165], v[0:1]
	v_fmac_f64_e32 v[164:165], -0.5, v[60:61]
	v_add_f64 v[32:33], v[32:33], v[8:9]
	v_fma_f64 v[60:61], s[14:15], v[50:51], v[164:165]
	v_add_f64 v[62:63], v[8:9], -v[0:1]
	v_add_f64 v[68:69], v[16:17], -v[24:25]
	v_fmac_f64_e32 v[164:165], s[10:11], v[50:51]
	v_add_f64 v[50:51], v[10:11], v[18:19]
	v_add_f64 v[32:33], v[32:33], v[16:17]
	v_fmac_f64_e32 v[60:61], s[8:9], v[38:39]
	v_add_f64 v[62:63], v[62:63], v[68:69]
	v_fmac_f64_e32 v[164:165], s[16:17], v[38:39]
	v_fma_f64 v[50:51], -0.5, v[50:51], v[166:167]
	v_add_f64 v[0:1], v[0:1], -v[24:25]
	v_add_f64 v[32:33], v[32:33], v[24:25]
	v_fmac_f64_e32 v[60:61], s[12:13], v[62:63]
	v_fmac_f64_e32 v[164:165], s[12:13], v[62:63]
	v_fma_f64 v[62:63], s[14:15], v[0:1], v[50:51]
	v_add_f64 v[8:9], v[8:9], -v[16:17]
	v_add_f64 v[16:17], v[2:3], -v[10:11]
	;; [unrolled: 1-line block ×3, first 2 shown]
	v_fmac_f64_e32 v[50:51], s[10:11], v[0:1]
	v_fmac_f64_e32 v[62:63], s[16:17], v[8:9]
	v_add_f64 v[16:17], v[16:17], v[24:25]
	v_fmac_f64_e32 v[50:51], s[8:9], v[8:9]
	v_fmac_f64_e32 v[62:63], s[12:13], v[16:17]
	;; [unrolled: 1-line block ×3, first 2 shown]
	v_add_f64 v[16:17], v[2:3], v[26:27]
	v_add_f64 v[38:39], v[166:167], v[2:3]
	v_fmac_f64_e32 v[166:167], -0.5, v[16:17]
	v_fma_f64 v[68:69], s[10:11], v[8:9], v[166:167]
	v_fmac_f64_e32 v[166:167], s[14:15], v[8:9]
	v_fmac_f64_e32 v[68:69], s[16:17], v[0:1]
	;; [unrolled: 1-line block ×3, first 2 shown]
	v_add_f64 v[0:1], v[168:169], v[4:5]
	v_add_f64 v[0:1], v[0:1], v[12:13]
	;; [unrolled: 1-line block ×4, first 2 shown]
	v_add_f64 v[2:3], v[10:11], -v[2:3]
	v_add_f64 v[10:11], v[18:19], -v[26:27]
	s_waitcnt lgkmcnt(0)
	v_add_f64 v[24:25], v[0:1], v[28:29]
	v_add_f64 v[0:1], v[12:13], v[20:21]
	;; [unrolled: 1-line block ×4, first 2 shown]
	v_fma_f64 v[18:19], -0.5, v[0:1], v[168:169]
	v_add_f64 v[0:1], v[6:7], -v[30:31]
	v_fmac_f64_e32 v[68:69], s[12:13], v[2:3]
	v_fmac_f64_e32 v[166:167], s[12:13], v[2:3]
	v_fma_f64 v[10:11], s[10:11], v[0:1], v[18:19]
	v_add_f64 v[2:3], v[14:15], -v[22:23]
	v_add_f64 v[8:9], v[4:5], -v[12:13]
	;; [unrolled: 1-line block ×3, first 2 shown]
	v_fmac_f64_e32 v[18:19], s[14:15], v[0:1]
	v_fmac_f64_e32 v[10:11], s[8:9], v[2:3]
	v_add_f64 v[8:9], v[8:9], v[16:17]
	v_fmac_f64_e32 v[18:19], s[16:17], v[2:3]
	v_fmac_f64_e32 v[10:11], s[12:13], v[8:9]
	;; [unrolled: 1-line block ×3, first 2 shown]
	v_add_f64 v[8:9], v[4:5], v[28:29]
	v_fmac_f64_e32 v[168:169], -0.5, v[8:9]
	v_add_f64 v[38:39], v[38:39], v[26:27]
	v_fma_f64 v[26:27], s[14:15], v[2:3], v[168:169]
	v_fmac_f64_e32 v[168:169], s[10:11], v[2:3]
	v_fmac_f64_e32 v[26:27], s[8:9], v[0:1]
	;; [unrolled: 1-line block ×3, first 2 shown]
	v_add_f64 v[0:1], v[170:171], v[6:7]
	v_add_f64 v[0:1], v[0:1], v[14:15]
	;; [unrolled: 1-line block ×3, first 2 shown]
	v_add_f64 v[8:9], v[12:13], -v[4:5]
	v_add_f64 v[16:17], v[20:21], -v[28:29]
	v_add_f64 v[70:71], v[0:1], v[30:31]
	v_add_f64 v[0:1], v[14:15], v[22:23]
	;; [unrolled: 1-line block ×3, first 2 shown]
	v_fma_f64 v[84:85], -0.5, v[0:1], v[170:171]
	v_add_f64 v[0:1], v[4:5], -v[28:29]
	v_fmac_f64_e32 v[26:27], s[12:13], v[8:9]
	v_fmac_f64_e32 v[168:169], s[12:13], v[8:9]
	v_fma_f64 v[28:29], s[14:15], v[0:1], v[84:85]
	v_add_f64 v[2:3], v[12:13], -v[20:21]
	v_add_f64 v[4:5], v[6:7], -v[14:15]
	;; [unrolled: 1-line block ×3, first 2 shown]
	v_fmac_f64_e32 v[84:85], s[10:11], v[0:1]
	v_fmac_f64_e32 v[28:29], s[16:17], v[2:3]
	v_add_f64 v[4:5], v[4:5], v[8:9]
	v_fmac_f64_e32 v[84:85], s[8:9], v[2:3]
	v_fmac_f64_e32 v[28:29], s[12:13], v[4:5]
	;; [unrolled: 1-line block ×3, first 2 shown]
	v_add_f64 v[4:5], v[6:7], v[30:31]
	v_fmac_f64_e32 v[170:171], -0.5, v[4:5]
	v_fma_f64 v[20:21], s[10:11], v[2:3], v[170:171]
	v_add_f64 v[4:5], v[14:15], -v[6:7]
	v_add_f64 v[6:7], v[22:23], -v[30:31]
	v_fmac_f64_e32 v[170:171], s[14:15], v[2:3]
	v_fmac_f64_e32 v[20:21], s[16:17], v[0:1]
	v_add_f64 v[4:5], v[4:5], v[6:7]
	v_fmac_f64_e32 v[170:171], s[8:9], v[0:1]
	v_fmac_f64_e32 v[20:21], s[12:13], v[4:5]
	;; [unrolled: 1-line block ×3, first 2 shown]
	v_mul_f64 v[22:23], v[28:29], s[8:9]
	v_mul_f64 v[30:31], v[20:21], s[10:11]
	;; [unrolled: 1-line block ×8, first 2 shown]
	v_fmac_f64_e32 v[22:23], s[18:19], v[10:11]
	v_fmac_f64_e32 v[30:31], s[12:13], v[26:27]
	;; [unrolled: 1-line block ×8, first 2 shown]
	v_add_f64 v[0:1], v[32:33], v[24:25]
	v_add_f64 v[4:5], v[48:49], v[22:23]
	;; [unrolled: 1-line block ×10, first 2 shown]
	v_add_f64 v[20:21], v[32:33], -v[24:25]
	v_add_f64 v[24:25], v[48:49], -v[22:23]
	;; [unrolled: 1-line block ×10, first 2 shown]
	s_barrier
	ds_write_b128 v36, v[0:3]
	ds_write_b128 v36, v[4:7] offset:16
	ds_write_b128 v36, v[8:11] offset:32
	;; [unrolled: 1-line block ×9, first 2 shown]
	s_waitcnt lgkmcnt(0)
	s_barrier
	ds_read_b128 v[164:167], v204
	ds_read_b128 v[0:3], v204 offset:2720
	ds_read_b128 v[4:7], v204 offset:5440
	;; [unrolled: 1-line block ×9, first 2 shown]
	s_waitcnt lgkmcnt(8)
	v_mul_f64 v[32:33], v[46:47], v[2:3]
	v_fmac_f64_e32 v[32:33], v[44:45], v[0:1]
	v_mul_f64 v[0:1], v[46:47], v[0:1]
	v_fma_f64 v[0:1], v[44:45], v[2:3], -v[0:1]
	s_waitcnt lgkmcnt(7)
	v_mul_f64 v[2:3], v[42:43], v[6:7]
	v_fmac_f64_e32 v[2:3], v[40:41], v[4:5]
	v_mul_f64 v[4:5], v[42:43], v[4:5]
	v_fma_f64 v[4:5], v[40:41], v[6:7], -v[4:5]
	;; [unrolled: 5-line block ×8, first 2 shown]
	v_add_f64 v[30:31], v[164:165], v[32:33]
	v_add_f64 v[30:31], v[30:31], v[2:3]
	;; [unrolled: 1-line block ×5, first 2 shown]
	v_fma_f64 v[56:57], -0.5, v[30:31], v[164:165]
	v_add_f64 v[30:31], v[0:1], -v[12:13]
	v_fma_f64 v[44:45], s[10:11], v[30:31], v[56:57]
	v_add_f64 v[34:35], v[4:5], -v[8:9]
	v_add_f64 v[38:39], v[32:33], -v[2:3]
	;; [unrolled: 1-line block ×3, first 2 shown]
	v_fmac_f64_e32 v[56:57], s[14:15], v[30:31]
	v_fmac_f64_e32 v[44:45], s[8:9], v[34:35]
	v_add_f64 v[38:39], v[38:39], v[42:43]
	v_fmac_f64_e32 v[56:57], s[16:17], v[34:35]
	v_fmac_f64_e32 v[44:45], s[12:13], v[38:39]
	;; [unrolled: 1-line block ×3, first 2 shown]
	v_add_f64 v[38:39], v[32:33], v[10:11]
	v_fmac_f64_e32 v[164:165], -0.5, v[38:39]
	v_fma_f64 v[52:53], s[14:15], v[34:35], v[164:165]
	v_fmac_f64_e32 v[164:165], s[10:11], v[34:35]
	v_fmac_f64_e32 v[52:53], s[8:9], v[30:31]
	;; [unrolled: 1-line block ×3, first 2 shown]
	v_add_f64 v[30:31], v[166:167], v[0:1]
	v_add_f64 v[30:31], v[30:31], v[4:5]
	v_add_f64 v[38:39], v[2:3], -v[32:33]
	v_add_f64 v[42:43], v[6:7], -v[10:11]
	v_add_f64 v[30:31], v[30:31], v[8:9]
	v_add_f64 v[38:39], v[38:39], v[42:43]
	v_add_f64 v[42:43], v[30:31], v[12:13]
	v_add_f64 v[30:31], v[4:5], v[8:9]
	v_fma_f64 v[58:59], -0.5, v[30:31], v[166:167]
	v_add_f64 v[10:11], v[32:33], -v[10:11]
	v_fma_f64 v[46:47], s[14:15], v[10:11], v[58:59]
	v_add_f64 v[2:3], v[2:3], -v[6:7]
	v_add_f64 v[6:7], v[0:1], -v[4:5]
	;; [unrolled: 1-line block ×3, first 2 shown]
	v_fmac_f64_e32 v[58:59], s[10:11], v[10:11]
	v_fmac_f64_e32 v[46:47], s[16:17], v[2:3]
	v_add_f64 v[6:7], v[6:7], v[30:31]
	v_fmac_f64_e32 v[58:59], s[8:9], v[2:3]
	v_fmac_f64_e32 v[46:47], s[12:13], v[6:7]
	;; [unrolled: 1-line block ×3, first 2 shown]
	v_add_f64 v[6:7], v[0:1], v[12:13]
	v_fmac_f64_e32 v[166:167], -0.5, v[6:7]
	v_fma_f64 v[54:55], s[10:11], v[2:3], v[166:167]
	v_add_f64 v[0:1], v[4:5], -v[0:1]
	v_add_f64 v[4:5], v[8:9], -v[12:13]
	v_fmac_f64_e32 v[166:167], s[14:15], v[2:3]
	v_fmac_f64_e32 v[54:55], s[16:17], v[10:11]
	v_add_f64 v[0:1], v[0:1], v[4:5]
	v_fmac_f64_e32 v[166:167], s[8:9], v[10:11]
	v_fmac_f64_e32 v[54:55], s[12:13], v[0:1]
	v_fmac_f64_e32 v[166:167], s[12:13], v[0:1]
	v_add_f64 v[0:1], v[168:169], v[14:15]
	v_add_f64 v[0:1], v[0:1], v[18:19]
	;; [unrolled: 1-line block ×5, first 2 shown]
	v_fma_f64 v[80:81], -0.5, v[0:1], v[168:169]
	v_add_f64 v[0:1], v[16:17], -v[28:29]
	v_fma_f64 v[72:73], s[10:11], v[0:1], v[80:81]
	v_add_f64 v[2:3], v[20:21], -v[24:25]
	v_add_f64 v[4:5], v[14:15], -v[18:19]
	;; [unrolled: 1-line block ×3, first 2 shown]
	v_fmac_f64_e32 v[80:81], s[14:15], v[0:1]
	v_fmac_f64_e32 v[72:73], s[8:9], v[2:3]
	v_add_f64 v[4:5], v[4:5], v[6:7]
	v_fmac_f64_e32 v[80:81], s[16:17], v[2:3]
	v_fmac_f64_e32 v[72:73], s[12:13], v[4:5]
	;; [unrolled: 1-line block ×3, first 2 shown]
	v_add_f64 v[4:5], v[14:15], v[26:27]
	v_fmac_f64_e32 v[168:169], -0.5, v[4:5]
	v_fma_f64 v[76:77], s[14:15], v[2:3], v[168:169]
	v_fmac_f64_e32 v[168:169], s[10:11], v[2:3]
	v_fmac_f64_e32 v[76:77], s[8:9], v[0:1]
	;; [unrolled: 1-line block ×3, first 2 shown]
	v_add_f64 v[0:1], v[170:171], v[16:17]
	v_add_f64 v[0:1], v[0:1], v[20:21]
	;; [unrolled: 1-line block ×3, first 2 shown]
	v_add_f64 v[4:5], v[18:19], -v[14:15]
	v_add_f64 v[6:7], v[22:23], -v[26:27]
	v_add_f64 v[66:67], v[0:1], v[28:29]
	v_add_f64 v[0:1], v[20:21], v[24:25]
	;; [unrolled: 1-line block ×3, first 2 shown]
	v_fma_f64 v[82:83], -0.5, v[0:1], v[170:171]
	v_add_f64 v[0:1], v[14:15], -v[26:27]
	v_fmac_f64_e32 v[76:77], s[12:13], v[4:5]
	v_fmac_f64_e32 v[168:169], s[12:13], v[4:5]
	v_fma_f64 v[74:75], s[14:15], v[0:1], v[82:83]
	v_add_f64 v[2:3], v[18:19], -v[22:23]
	v_add_f64 v[4:5], v[16:17], -v[20:21]
	;; [unrolled: 1-line block ×3, first 2 shown]
	v_fmac_f64_e32 v[82:83], s[10:11], v[0:1]
	v_fmac_f64_e32 v[74:75], s[16:17], v[2:3]
	v_add_f64 v[4:5], v[4:5], v[6:7]
	v_fmac_f64_e32 v[82:83], s[8:9], v[2:3]
	v_fmac_f64_e32 v[74:75], s[12:13], v[4:5]
	;; [unrolled: 1-line block ×3, first 2 shown]
	v_add_f64 v[4:5], v[16:17], v[28:29]
	v_fmac_f64_e32 v[170:171], -0.5, v[4:5]
	v_fma_f64 v[78:79], s[10:11], v[2:3], v[170:171]
	v_fmac_f64_e32 v[170:171], s[14:15], v[2:3]
	v_fmac_f64_e32 v[78:79], s[16:17], v[0:1]
	;; [unrolled: 1-line block ×3, first 2 shown]
	s_barrier
	scratch_load_dword v0, off, off         ; 4-byte Folded Reload
	v_add_f64 v[4:5], v[20:21], -v[16:17]
	v_add_f64 v[6:7], v[24:25], -v[28:29]
	v_add_f64 v[4:5], v[4:5], v[6:7]
	v_fmac_f64_e32 v[52:53], s[12:13], v[38:39]
	v_fmac_f64_e32 v[164:165], s[12:13], v[38:39]
	;; [unrolled: 1-line block ×4, first 2 shown]
	s_waitcnt vmcnt(0)
	ds_write_b128 v0, v[40:43]
	ds_write_b128 v0, v[44:47] offset:160
	ds_write_b128 v0, v[52:55] offset:320
	ds_write_b128 v0, v[164:167] offset:480
	ds_write_b128 v0, v[56:59] offset:640
	ds_write_b128 v37, v[64:67]
	ds_write_b128 v37, v[72:75] offset:160
	ds_write_b128 v37, v[76:79] offset:320
	ds_write_b128 v37, v[168:171] offset:480
	ds_write_b128 v37, v[80:83] offset:640
	s_waitcnt lgkmcnt(0)
	s_barrier
	s_and_saveexec_b64 s[8:9], s[0:1]
	s_cbranch_execz .LBB0_7
; %bb.6:
	ds_read_b128 v[40:43], v204
	ds_read_b128 v[44:47], v204 offset:800
	ds_read_b128 v[52:55], v204 offset:1600
	;; [unrolled: 1-line block ×16, first 2 shown]
.LBB0_7:
	s_or_b64 exec, exec, s[8:9]
	s_and_saveexec_b64 s[8:9], s[0:1]
	s_cbranch_execz .LBB0_9
; %bb.8:
	v_accvgpr_read_b32 v2, a88
	v_accvgpr_read_b32 v4, a90
	;; [unrolled: 1-line block ×5, first 2 shown]
	s_waitcnt lgkmcnt(8)
	v_mul_f64 v[172:173], v[4:5], v[170:171]
	v_accvgpr_read_b32 v8, a106
	v_accvgpr_read_b32 v9, a107
	v_mul_f64 v[0:1], v[4:5], v[168:169]
	v_fmac_f64_e32 v[172:173], v[2:3], v[168:169]
	v_accvgpr_read_b32 v7, a105
	s_waitcnt lgkmcnt(7)
	v_mul_f64 v[174:175], v[8:9], v[82:83]
	v_fma_f64 v[168:169], v[2:3], v[170:171], -v[0:1]
	v_mul_f64 v[0:1], v[8:9], v[80:81]
	v_fmac_f64_e32 v[174:175], v[6:7], v[80:81]
	v_fma_f64 v[132:133], v[6:7], v[82:83], -v[0:1]
	v_accvgpr_read_b32 v4, a76
	v_accvgpr_read_b32 v6, a78
	;; [unrolled: 1-line block ×4, first 2 shown]
	v_mul_f64 v[116:117], v[6:7], v[78:79]
	v_accvgpr_read_b32 v8, a100
	v_mul_f64 v[2:3], v[6:7], v[76:77]
	v_fmac_f64_e32 v[116:117], v[4:5], v[76:77]
	v_accvgpr_read_b32 v10, a102
	v_accvgpr_read_b32 v11, a103
	v_fma_f64 v[134:135], v[4:5], v[78:79], -v[2:3]
	v_accvgpr_read_b32 v4, a68
	v_accvgpr_read_b32 v9, a101
	s_waitcnt lgkmcnt(6)
	v_mul_f64 v[2:3], v[10:11], v[160:161]
	v_accvgpr_read_b32 v6, a70
	v_accvgpr_read_b32 v7, a71
	;; [unrolled: 1-line block ×3, first 2 shown]
	s_waitcnt lgkmcnt(5)
	v_accvgpr_read_b32 v16, a128
	v_fma_f64 v[128:129], v[8:9], v[162:163], -v[2:3]
	v_accvgpr_read_b32 v5, a69
	v_mul_f64 v[106:107], v[6:7], v[74:75]
	v_accvgpr_read_b32 v14, a94
	v_accvgpr_read_b32 v15, a95
	;; [unrolled: 1-line block ×5, first 2 shown]
	v_mul_f64 v[2:3], v[6:7], v[72:73]
	v_fmac_f64_e32 v[106:107], v[4:5], v[72:73]
	v_accvgpr_read_b32 v13, a93
	v_mul_f64 v[104:105], v[14:15], v[18:19]
	v_fma_f64 v[130:131], v[4:5], v[74:75], -v[2:3]
	v_mul_f64 v[2:3], v[14:15], v[16:17]
	v_accvgpr_read_b32 v4, a60
	v_fmac_f64_e32 v[104:105], v[12:13], v[16:17]
	v_fma_f64 v[120:121], v[12:13], v[18:19], -v[2:3]
	v_accvgpr_read_b32 v6, a62
	v_accvgpr_read_b32 v7, a63
	;; [unrolled: 1-line block ×3, first 2 shown]
	s_waitcnt lgkmcnt(4)
	v_accvgpr_read_b32 v18, a124
	v_mul_f64 v[118:119], v[10:11], v[162:163]
	v_accvgpr_read_b32 v5, a61
	v_accvgpr_read_b32 v14, a82
	;; [unrolled: 1-line block ×6, first 2 shown]
	v_mul_f64 v[2:3], v[6:7], v[64:65]
	v_fmac_f64_e32 v[118:119], v[8:9], v[160:161]
	v_accvgpr_read_b32 v13, a81
	v_mul_f64 v[96:97], v[14:15], v[20:21]
	v_fma_f64 v[8:9], v[4:5], v[66:67], -v[2:3]
	v_mul_f64 v[2:3], v[14:15], v[18:19]
	v_mul_f64 v[98:99], v[6:7], v[66:67]
	v_fmac_f64_e32 v[96:97], v[12:13], v[18:19]
	v_fma_f64 v[6:7], v[12:13], v[20:21], -v[2:3]
	v_accvgpr_read_b32 v18, a56
	v_accvgpr_read_b32 v20, a58
	;; [unrolled: 1-line block ×4, first 2 shown]
	s_waitcnt lgkmcnt(3)
	v_accvgpr_read_b32 v66, a120
	v_fmac_f64_e32 v[98:99], v[4:5], v[64:65]
	v_accvgpr_read_b32 v19, a57
	v_mul_f64 v[4:5], v[20:21], v[58:59]
	v_accvgpr_read_b32 v36, a98
	v_accvgpr_read_b32 v37, a99
	;; [unrolled: 1-line block ×5, first 2 shown]
	v_mul_f64 v[12:13], v[20:21], v[56:57]
	v_fmac_f64_e32 v[4:5], v[18:19], v[56:57]
	v_accvgpr_read_b32 v35, a97
	v_mul_f64 v[2:3], v[36:37], v[68:69]
	v_fma_f64 v[18:19], v[18:19], v[58:59], -v[12:13]
	v_mul_f64 v[12:13], v[36:37], v[66:67]
	v_accvgpr_read_b32 v36, a52
	s_waitcnt lgkmcnt(2)
	v_mov_b64_e32 v[70:71], v[154:155]
	v_fmac_f64_e32 v[2:3], v[34:35], v[66:67]
	v_fma_f64 v[14:15], v[34:35], v[68:69], -v[12:13]
	v_accvgpr_read_b32 v38, a54
	v_accvgpr_read_b32 v39, a55
	;; [unrolled: 1-line block ×3, first 2 shown]
	v_mov_b64_e32 v[72:73], v[156:157]
	v_accvgpr_read_b32 v37, a53
	v_accvgpr_read_b32 v68, a86
	;; [unrolled: 1-line block ×3, first 2 shown]
	v_mul_f64 v[20:21], v[38:39], v[164:165]
	v_accvgpr_read_b32 v67, a85
	v_mul_f64 v[12:13], v[68:69], v[72:73]
	v_fma_f64 v[124:125], v[36:37], v[166:167], -v[20:21]
	v_mul_f64 v[20:21], v[68:69], v[70:71]
	v_fmac_f64_e32 v[12:13], v[66:67], v[70:71]
	v_fma_f64 v[112:113], v[66:67], v[72:73], -v[20:21]
	v_accvgpr_read_b32 v69, a51
	s_waitcnt lgkmcnt(1)
	v_mov_b64_e32 v[78:79], v[150:151]
	v_accvgpr_read_b32 v68, a50
	v_accvgpr_read_b32 v70, a72
	v_mov_b64_e32 v[80:81], v[152:153]
	v_accvgpr_read_b32 v67, a49
	v_accvgpr_read_b32 v66, a48
	v_mul_f64 v[114:115], v[68:69], v[54:55]
	v_accvgpr_read_b32 v72, a74
	v_accvgpr_read_b32 v73, a75
	v_mul_f64 v[20:21], v[68:69], v[52:53]
	v_fmac_f64_e32 v[114:115], v[66:67], v[52:53]
	v_accvgpr_read_b32 v71, a73
	v_mul_f64 v[110:111], v[72:73], v[80:81]
	v_fma_f64 v[144:145], v[66:67], v[54:55], -v[20:21]
	v_mul_f64 v[20:21], v[72:73], v[78:79]
	v_accvgpr_read_b32 v69, a47
	s_waitcnt lgkmcnt(0)
	v_mov_b64_e32 v[74:75], v[146:147]
	v_fmac_f64_e32 v[110:111], v[70:71], v[78:79]
	v_fma_f64 v[102:103], v[70:71], v[80:81], -v[20:21]
	v_accvgpr_read_b32 v68, a46
	v_accvgpr_read_b32 v73, a67
	v_mov_b64_e32 v[76:77], v[148:149]
	v_accvgpr_read_b32 v67, a45
	v_accvgpr_read_b32 v66, a44
	v_mul_f64 v[126:127], v[68:69], v[46:47]
	v_accvgpr_read_b32 v72, a66
	v_fmac_f64_e32 v[126:127], v[66:67], v[44:45]
	v_accvgpr_read_b32 v71, a65
	v_accvgpr_read_b32 v70, a64
	v_mul_f64 v[100:101], v[72:73], v[76:77]
	v_mul_f64 v[44:45], v[68:69], v[44:45]
	v_fmac_f64_e32 v[100:101], v[70:71], v[74:75]
	s_mov_b32 s34, 0xacd6c6b4
	v_fma_f64 v[140:141], v[66:67], v[46:47], -v[44:45]
	v_mul_f64 v[44:45], v[72:73], v[74:75]
	v_mul_f64 v[108:109], v[38:39], v[166:167]
	s_mov_b32 s36, 0x5d8e7cdc
	v_add_f64 v[28:29], v[126:127], -v[100:101]
	s_mov_b32 s35, 0xbfc7851a
	v_fma_f64 v[136:137], v[70:71], v[76:77], -v[44:45]
	s_mov_b32 s28, 0x7faef3
	v_fmac_f64_e32 v[108:109], v[36:37], v[164:165]
	s_mov_b32 s26, 0x4363dd80
	v_add_f64 v[154:155], v[114:115], -v[110:111]
	s_mov_b32 s37, 0x3fd71e95
	s_mov_b32 s24, 0x370991
	v_mul_f64 v[52:53], v[28:29], s[34:35]
	v_add_f64 v[138:139], v[140:141], v[136:137]
	s_mov_b32 s29, 0xbfef7484
	s_mov_b32 s40, 0x2a9d6da3
	v_add_f64 v[22:23], v[108:109], -v[12:13]
	s_mov_b32 s27, 0xbfe0d888
	s_mov_b32 s22, 0x910ea3b9
	v_mul_f64 v[58:59], v[154:155], s[36:37]
	v_add_f64 v[20:21], v[144:145], v[102:103]
	s_mov_b32 s25, 0x3fedd6d0
	v_fma_f64 v[44:45], s[28:29], v[138:139], v[52:53]
	v_fma_f64 v[52:53], v[138:139], s[28:29], -v[52:53]
	s_mov_b32 s20, 0x6c9a05f6
	v_add_f64 v[152:153], v[4:5], -v[2:3]
	s_mov_b32 s41, 0x3fe58eea
	s_mov_b32 s18, 0x75d4884
	v_mul_f64 v[56:57], v[22:23], s[26:27]
	v_add_f64 v[146:147], v[124:125], v[112:113]
	s_mov_b32 s23, 0xbfeb34fa
	v_fma_f64 v[38:39], s[24:25], v[20:21], v[58:59]
	v_fma_f64 v[58:59], v[20:21], s[24:25], -v[58:59]
	v_add_f64 v[52:53], v[42:43], v[52:53]
	s_mov_b32 s30, 0x7c9e640b
	v_add_f64 v[156:157], v[98:99], -v[96:97]
	s_mov_b32 s21, 0xbfe9895b
	s_mov_b32 s16, 0x6ed5f1bb
	v_mul_f64 v[64:65], v[152:153], s[40:41]
	v_add_f64 v[148:149], v[18:19], v[14:15]
	s_mov_b32 s19, 0x3fe7a5f6
	v_fma_f64 v[36:37], s[22:23], v[146:147], v[56:57]
	v_add_f64 v[44:45], v[42:43], v[44:45]
	v_add_f64 v[182:183], v[140:141], -v[136:137]
	v_fma_f64 v[56:57], v[146:147], s[22:23], -v[56:57]
	v_add_f64 v[52:53], v[58:59], v[52:53]
	s_mov_b32 s14, 0x923c349f
	v_add_f64 v[160:161], v[106:107], -v[104:105]
	s_mov_b32 s31, 0x3feca52d
	s_mov_b32 s12, 0x2b2883cd
	v_mul_f64 v[62:63], v[156:157], s[20:21]
	v_add_f64 v[122:123], v[8:9], v[6:7]
	s_mov_b32 s17, 0xbfe348c8
	v_fma_f64 v[34:35], s[18:19], v[148:149], v[64:65]
	v_add_f64 v[38:39], v[38:39], v[44:45]
	v_add_f64 v[180:181], v[144:145], -v[102:103]
	v_add_f64 v[166:167], v[126:127], v[100:101]
	v_mul_f64 v[90:91], v[182:183], s[34:35]
	v_fma_f64 v[64:65], v[148:149], s[18:19], -v[64:65]
	v_add_f64 v[52:53], v[56:57], v[52:53]
	s_mov_b32 s46, 0xeb564b22
	v_add_f64 v[170:171], v[116:117], -v[118:119]
	s_mov_b32 s15, 0xbfeec746
	s_mov_b32 s10, 0xc61f0d01
	v_mul_f64 v[60:61], v[160:161], s[30:31]
	v_add_f64 v[16:17], v[130:131], v[120:121]
	s_mov_b32 s13, 0x3fdc86fa
	v_fma_f64 v[32:33], s[16:17], v[122:123], v[62:63]
	v_add_f64 v[36:37], v[36:37], v[38:39]
	v_add_f64 v[178:179], v[124:125], -v[112:113]
	v_add_f64 v[164:165], v[114:115], v[110:111]
	v_mul_f64 v[86:87], v[180:181], s[36:37]
	v_fma_f64 v[92:93], v[166:167], s[28:29], -v[90:91]
	v_fma_f64 v[62:63], v[122:123], s[16:17], -v[62:63]
	v_add_f64 v[52:53], v[64:65], v[52:53]
	v_add_f64 v[176:177], v[172:173], -v[174:175]
	s_mov_b32 s47, 0x3fefdd0d
	s_mov_b32 s0, 0x3259b75e
	v_mul_f64 v[50:51], v[170:171], s[14:15]
	v_add_f64 v[10:11], v[134:135], v[128:129]
	s_mov_b32 s11, 0xbfd183b1
	v_fma_f64 v[30:31], s[12:13], v[16:17], v[60:61]
	v_add_f64 v[34:35], v[34:35], v[36:37]
	v_add_f64 v[38:39], v[18:19], -v[14:15]
	v_add_f64 v[162:163], v[108:109], v[12:13]
	v_mul_f64 v[82:83], v[178:179], s[26:27]
	v_fma_f64 v[88:89], v[164:165], s[24:25], -v[86:87]
	v_add_f64 v[92:93], v[40:41], v[92:93]
	v_fma_f64 v[60:61], v[16:17], s[12:13], -v[60:61]
	v_add_f64 v[52:53], v[62:63], v[52:53]
	v_mul_f64 v[48:49], v[176:177], s[46:47]
	v_add_f64 v[0:1], v[168:169], v[132:133]
	s_mov_b32 s1, 0x3fb79ee6
	v_fma_f64 v[26:27], s[10:11], v[10:11], v[50:51]
	v_add_f64 v[32:33], v[32:33], v[34:35]
	v_add_f64 v[36:37], v[8:9], -v[6:7]
	v_add_f64 v[158:159], v[4:5], v[2:3]
	v_mul_f64 v[78:79], v[38:39], s[40:41]
	v_fma_f64 v[84:85], v[162:163], s[22:23], -v[82:83]
	v_add_f64 v[88:89], v[88:89], v[92:93]
	v_fma_f64 v[50:51], v[10:11], s[10:11], -v[50:51]
	v_add_f64 v[52:53], v[60:61], v[52:53]
	v_fma_f64 v[24:25], s[0:1], v[0:1], v[48:49]
	v_add_f64 v[30:31], v[30:31], v[32:33]
	v_add_f64 v[34:35], v[130:131], -v[120:121]
	v_add_f64 v[150:151], v[98:99], v[96:97]
	v_mul_f64 v[74:75], v[36:37], s[20:21]
	v_fma_f64 v[80:81], v[158:159], s[18:19], -v[78:79]
	v_add_f64 v[84:85], v[84:85], v[88:89]
	v_fma_f64 v[48:49], v[0:1], s[0:1], -v[48:49]
	v_add_f64 v[50:51], v[50:51], v[52:53]
	v_fmac_f64_e32 v[90:91], s[28:29], v[166:167]
	v_add_f64 v[26:27], v[26:27], v[30:31]
	v_add_f64 v[32:33], v[134:135], -v[128:129]
	v_add_f64 v[142:143], v[106:107], v[104:105]
	v_mul_f64 v[70:71], v[34:35], s[30:31]
	v_fma_f64 v[76:77], v[150:151], s[16:17], -v[74:75]
	v_add_f64 v[80:81], v[80:81], v[84:85]
	v_add_f64 v[50:51], v[48:49], v[50:51]
	v_fmac_f64_e32 v[86:87], s[24:25], v[164:165]
	v_add_f64 v[48:49], v[40:41], v[90:91]
	v_add_f64 v[46:47], v[24:25], v[26:27]
	v_add_f64 v[30:31], v[168:169], -v[132:133]
	v_add_f64 v[26:27], v[116:117], v[118:119]
	v_mul_f64 v[66:67], v[32:33], s[14:15]
	v_fma_f64 v[72:73], v[142:143], s[12:13], -v[70:71]
	v_add_f64 v[76:77], v[76:77], v[80:81]
	v_fmac_f64_e32 v[82:83], s[22:23], v[162:163]
	v_add_f64 v[48:49], v[86:87], v[48:49]
	v_mul_f64 v[80:81], v[28:29], s[26:27]
	v_add_f64 v[24:25], v[172:173], v[174:175]
	v_mul_f64 v[54:55], v[30:31], s[46:47]
	v_fma_f64 v[68:69], v[26:27], s[10:11], -v[66:67]
	v_add_f64 v[72:73], v[72:73], v[76:77]
	v_fmac_f64_e32 v[78:79], s[18:19], v[158:159]
	v_add_f64 v[48:49], v[82:83], v[48:49]
	s_mov_b32 s43, 0xbfefdd0d
	s_mov_b32 s42, s46
	v_mul_f64 v[76:77], v[154:155], s[30:31]
	v_fma_f64 v[82:83], s[22:23], v[138:139], v[80:81]
	v_mul_f64 v[186:187], v[182:183], s[26:27]
	v_fma_f64 v[44:45], v[24:25], s[0:1], -v[54:55]
	v_add_f64 v[68:69], v[68:69], v[72:73]
	v_fmac_f64_e32 v[74:75], s[16:17], v[150:151]
	v_add_f64 v[48:49], v[78:79], v[48:49]
	s_mov_b32 s53, 0x3fe9895b
	s_mov_b32 s52, s20
	v_mul_f64 v[72:73], v[22:23], s[42:43]
	v_fma_f64 v[78:79], s[12:13], v[20:21], v[76:77]
	v_add_f64 v[82:83], v[42:43], v[82:83]
	v_mul_f64 v[94:95], v[180:181], s[30:31]
	v_fma_f64 v[188:189], v[166:167], s[22:23], -v[186:187]
	v_add_f64 v[44:45], v[44:45], v[68:69]
	v_fmac_f64_e32 v[70:71], s[12:13], v[142:143]
	v_add_f64 v[48:49], v[74:75], v[48:49]
	s_mov_b32 s39, 0xbfd71e95
	s_mov_b32 s38, s36
	v_mul_f64 v[68:69], v[152:153], s[52:53]
	v_fma_f64 v[74:75], s[0:1], v[146:147], v[72:73]
	v_add_f64 v[78:79], v[78:79], v[82:83]
	v_mul_f64 v[90:91], v[178:179], s[42:43]
	v_fma_f64 v[184:185], v[164:165], s[12:13], -v[94:95]
	v_add_f64 v[188:189], v[40:41], v[188:189]
	v_fmac_f64_e32 v[66:67], s[10:11], v[26:27]
	v_add_f64 v[48:49], v[70:71], v[48:49]
	v_mul_f64 v[64:65], v[156:157], s[38:39]
	v_fma_f64 v[70:71], s[16:17], v[148:149], v[68:69]
	v_add_f64 v[74:75], v[74:75], v[78:79]
	v_mul_f64 v[86:87], v[38:39], s[52:53]
	v_fma_f64 v[92:93], v[162:163], s[0:1], -v[90:91]
	v_add_f64 v[184:185], v[184:185], v[188:189]
	v_add_f64 v[48:49], v[66:67], v[48:49]
	v_mul_f64 v[60:61], v[160:161], s[34:35]
	v_fma_f64 v[66:67], s[24:25], v[122:123], v[64:65]
	v_add_f64 v[70:71], v[70:71], v[74:75]
	v_mul_f64 v[82:83], v[36:37], s[38:39]
	v_fma_f64 v[88:89], v[158:159], s[16:17], -v[86:87]
	v_add_f64 v[92:93], v[92:93], v[184:185]
	v_fmac_f64_e32 v[54:55], s[0:1], v[24:25]
	v_mul_f64 v[58:59], v[170:171], s[40:41]
	v_fma_f64 v[62:63], s[28:29], v[16:17], v[60:61]
	v_add_f64 v[66:67], v[66:67], v[70:71]
	v_mul_f64 v[74:75], v[34:35], s[34:35]
	v_fma_f64 v[84:85], v[150:151], s[24:25], -v[82:83]
	v_add_f64 v[88:89], v[88:89], v[92:93]
	v_add_f64 v[48:49], v[54:55], v[48:49]
	v_mul_f64 v[56:57], v[176:177], s[14:15]
	v_fma_f64 v[54:55], s[18:19], v[10:11], v[58:59]
	v_add_f64 v[62:63], v[62:63], v[66:67]
	v_mul_f64 v[66:67], v[32:33], s[40:41]
	v_fma_f64 v[78:79], v[142:143], s[28:29], -v[74:75]
	v_add_f64 v[84:85], v[84:85], v[88:89]
	v_fma_f64 v[52:53], s[10:11], v[0:1], v[56:57]
	v_add_f64 v[54:55], v[54:55], v[62:63]
	v_mul_f64 v[62:63], v[30:31], s[14:15]
	v_fma_f64 v[70:71], v[26:27], s[18:19], -v[66:67]
	v_add_f64 v[78:79], v[78:79], v[84:85]
	v_add_f64 v[54:55], v[52:53], v[54:55]
	v_fma_f64 v[52:53], v[24:25], s[10:11], -v[62:63]
	v_add_f64 v[70:71], v[70:71], v[78:79]
	v_add_f64 v[52:53], v[52:53], v[70:71]
	v_fma_f64 v[70:71], v[146:147], s[0:1], -v[72:73]
	v_fma_f64 v[72:73], v[20:21], s[12:13], -v[76:77]
	;; [unrolled: 1-line block ×3, first 2 shown]
	v_add_f64 v[76:77], v[42:43], v[76:77]
	v_add_f64 v[72:73], v[72:73], v[76:77]
	v_fma_f64 v[68:69], v[148:149], s[16:17], -v[68:69]
	v_add_f64 v[70:71], v[70:71], v[72:73]
	v_fma_f64 v[64:65], v[122:123], s[24:25], -v[64:65]
	;; [unrolled: 2-line block ×5, first 2 shown]
	v_add_f64 v[58:59], v[58:59], v[60:61]
	v_fmac_f64_e32 v[186:187], s[22:23], v[166:167]
	v_add_f64 v[58:59], v[56:57], v[58:59]
	v_fmac_f64_e32 v[94:95], s[12:13], v[164:165]
	;; [unrolled: 2-line block ×3, first 2 shown]
	v_add_f64 v[56:57], v[94:95], v[56:57]
	s_mov_b32 s51, 0x3feec746
	s_mov_b32 s50, s14
	v_mul_f64 v[88:89], v[28:29], s[20:21]
	v_fmac_f64_e32 v[86:87], s[16:17], v[158:159]
	v_add_f64 v[56:57], v[90:91], v[56:57]
	v_mul_f64 v[84:85], v[154:155], s[50:51]
	v_fma_f64 v[90:91], s[16:17], v[138:139], v[88:89]
	v_mul_f64 v[194:195], v[182:183], s[20:21]
	v_fmac_f64_e32 v[82:83], s[24:25], v[150:151]
	v_add_f64 v[56:57], v[86:87], v[56:57]
	v_mul_f64 v[80:81], v[22:23], s[38:39]
	v_fma_f64 v[86:87], s[10:11], v[20:21], v[84:85]
	v_add_f64 v[90:91], v[42:43], v[90:91]
	v_mul_f64 v[190:191], v[180:181], s[50:51]
	v_fma_f64 v[196:197], v[166:167], s[16:17], -v[194:195]
	v_add_f64 v[56:57], v[82:83], v[56:57]
	v_mul_f64 v[76:77], v[152:153], s[26:27]
	v_fma_f64 v[82:83], s[24:25], v[146:147], v[80:81]
	v_add_f64 v[86:87], v[86:87], v[90:91]
	v_mul_f64 v[186:187], v[178:179], s[38:39]
	v_fma_f64 v[192:193], v[164:165], s[10:11], -v[190:191]
	v_add_f64 v[196:197], v[40:41], v[196:197]
	v_fmac_f64_e32 v[74:75], s[28:29], v[142:143]
	s_mov_b32 s45, 0xbfe58eea
	s_mov_b32 s44, s40
	v_mul_f64 v[72:73], v[156:157], s[46:47]
	v_fma_f64 v[78:79], s[22:23], v[148:149], v[76:77]
	v_add_f64 v[82:83], v[82:83], v[86:87]
	v_mul_f64 v[94:95], v[38:39], s[26:27]
	v_fma_f64 v[188:189], v[162:163], s[24:25], -v[186:187]
	v_add_f64 v[192:193], v[192:193], v[196:197]
	v_fmac_f64_e32 v[66:67], s[18:19], v[26:27]
	v_add_f64 v[56:57], v[74:75], v[56:57]
	v_mul_f64 v[68:69], v[160:161], s[44:45]
	v_fma_f64 v[74:75], s[0:1], v[122:123], v[72:73]
	v_add_f64 v[78:79], v[78:79], v[82:83]
	v_mul_f64 v[90:91], v[36:37], s[46:47]
	v_fma_f64 v[184:185], v[158:159], s[22:23], -v[94:95]
	v_add_f64 v[188:189], v[188:189], v[192:193]
	v_fmac_f64_e32 v[62:63], s[10:11], v[24:25]
	v_add_f64 v[56:57], v[66:67], v[56:57]
	v_mul_f64 v[66:67], v[170:171], s[34:35]
	v_fma_f64 v[70:71], s[18:19], v[16:17], v[68:69]
	v_add_f64 v[74:75], v[74:75], v[78:79]
	v_mul_f64 v[82:83], v[34:35], s[44:45]
	v_fma_f64 v[92:93], v[150:151], s[0:1], -v[90:91]
	v_add_f64 v[184:185], v[184:185], v[188:189]
	v_add_f64 v[56:57], v[62:63], v[56:57]
	v_mul_f64 v[64:65], v[176:177], s[30:31]
	v_fma_f64 v[62:63], s[28:29], v[10:11], v[66:67]
	v_add_f64 v[70:71], v[70:71], v[74:75]
	v_mul_f64 v[74:75], v[32:33], s[34:35]
	v_fma_f64 v[86:87], v[142:143], s[18:19], -v[82:83]
	v_add_f64 v[92:93], v[92:93], v[184:185]
	v_fma_f64 v[60:61], s[12:13], v[0:1], v[64:65]
	v_add_f64 v[62:63], v[62:63], v[70:71]
	v_mul_f64 v[70:71], v[30:31], s[30:31]
	v_fma_f64 v[78:79], v[26:27], s[28:29], -v[74:75]
	v_add_f64 v[86:87], v[86:87], v[92:93]
	v_add_f64 v[62:63], v[60:61], v[62:63]
	v_fma_f64 v[60:61], v[24:25], s[12:13], -v[70:71]
	v_add_f64 v[78:79], v[78:79], v[86:87]
	v_add_f64 v[60:61], v[60:61], v[78:79]
	v_fma_f64 v[78:79], v[146:147], s[24:25], -v[80:81]
	v_fma_f64 v[80:81], v[20:21], s[10:11], -v[84:85]
	;; [unrolled: 1-line block ×3, first 2 shown]
	v_add_f64 v[84:85], v[42:43], v[84:85]
	v_add_f64 v[80:81], v[80:81], v[84:85]
	v_fma_f64 v[76:77], v[148:149], s[22:23], -v[76:77]
	v_add_f64 v[78:79], v[78:79], v[80:81]
	v_fma_f64 v[72:73], v[122:123], s[0:1], -v[72:73]
	;; [unrolled: 2-line block ×5, first 2 shown]
	v_add_f64 v[66:67], v[66:67], v[68:69]
	v_fmac_f64_e32 v[194:195], s[16:17], v[166:167]
	v_add_f64 v[66:67], v[64:65], v[66:67]
	v_fmac_f64_e32 v[190:191], s[10:11], v[164:165]
	v_add_f64 v[64:65], v[40:41], v[194:195]
	v_fmac_f64_e32 v[186:187], s[24:25], v[162:163]
	v_add_f64 v[64:65], v[190:191], v[64:65]
	s_mov_b32 s54, s26
	v_mul_f64 v[184:185], v[28:29], s[14:15]
	v_fmac_f64_e32 v[94:95], s[22:23], v[158:159]
	v_add_f64 v[64:65], v[186:187], v[64:65]
	v_mul_f64 v[92:93], v[154:155], s[54:55]
	v_fma_f64 v[186:187], s[10:11], v[138:139], v[184:185]
	v_mul_f64 v[202:203], v[182:183], s[14:15]
	v_fmac_f64_e32 v[90:91], s[0:1], v[150:151]
	v_add_f64 v[64:65], v[94:95], v[64:65]
	s_mov_b32 s49, 0xbfeca52d
	s_mov_b32 s48, s30
	v_mul_f64 v[88:89], v[22:23], s[40:41]
	v_fma_f64 v[94:95], s[22:23], v[20:21], v[92:93]
	v_add_f64 v[186:187], v[42:43], v[186:187]
	v_mul_f64 v[198:199], v[180:181], s[54:55]
	v_fma_f64 v[206:207], v[166:167], s[10:11], -v[202:203]
	v_add_f64 v[64:65], v[90:91], v[64:65]
	v_mul_f64 v[84:85], v[152:153], s[48:49]
	v_fma_f64 v[90:91], s[18:19], v[146:147], v[88:89]
	v_add_f64 v[94:95], v[94:95], v[186:187]
	v_mul_f64 v[194:195], v[178:179], s[40:41]
	v_fma_f64 v[200:201], v[164:165], s[22:23], -v[198:199]
	v_add_f64 v[206:207], v[40:41], v[206:207]
	v_fmac_f64_e32 v[82:83], s[18:19], v[142:143]
	v_mul_f64 v[80:81], v[156:157], s[34:35]
	v_fma_f64 v[86:87], s[12:13], v[148:149], v[84:85]
	v_add_f64 v[90:91], v[90:91], v[94:95]
	v_mul_f64 v[190:191], v[38:39], s[48:49]
	v_fma_f64 v[196:197], v[162:163], s[18:19], -v[194:195]
	v_add_f64 v[200:201], v[200:201], v[206:207]
	v_fmac_f64_e32 v[74:75], s[28:29], v[26:27]
	v_add_f64 v[64:65], v[82:83], v[64:65]
	v_mul_f64 v[76:77], v[160:161], s[46:47]
	v_fma_f64 v[82:83], s[28:29], v[122:123], v[80:81]
	v_add_f64 v[86:87], v[86:87], v[90:91]
	v_mul_f64 v[186:187], v[36:37], s[34:35]
	v_fma_f64 v[192:193], v[158:159], s[12:13], -v[190:191]
	v_add_f64 v[196:197], v[196:197], v[200:201]
	v_fmac_f64_e32 v[70:71], s[12:13], v[24:25]
	v_add_f64 v[64:65], v[74:75], v[64:65]
	v_mul_f64 v[74:75], v[170:171], s[38:39]
	v_fma_f64 v[78:79], s[0:1], v[16:17], v[76:77]
	v_add_f64 v[82:83], v[82:83], v[86:87]
	v_mul_f64 v[90:91], v[34:35], s[46:47]
	v_fma_f64 v[188:189], v[150:151], s[28:29], -v[186:187]
	v_add_f64 v[192:193], v[192:193], v[196:197]
	v_add_f64 v[64:65], v[70:71], v[64:65]
	v_mul_f64 v[72:73], v[176:177], s[20:21]
	v_fma_f64 v[70:71], s[24:25], v[10:11], v[74:75]
	v_add_f64 v[78:79], v[78:79], v[82:83]
	v_mul_f64 v[82:83], v[32:33], s[38:39]
	v_fma_f64 v[94:95], v[142:143], s[0:1], -v[90:91]
	v_add_f64 v[188:189], v[188:189], v[192:193]
	v_fma_f64 v[68:69], s[16:17], v[0:1], v[72:73]
	v_add_f64 v[70:71], v[70:71], v[78:79]
	v_mul_f64 v[78:79], v[30:31], s[20:21]
	v_fma_f64 v[86:87], v[26:27], s[24:25], -v[82:83]
	v_add_f64 v[94:95], v[94:95], v[188:189]
	v_add_f64 v[70:71], v[68:69], v[70:71]
	v_fma_f64 v[68:69], v[24:25], s[16:17], -v[78:79]
	v_add_f64 v[86:87], v[86:87], v[94:95]
	v_add_f64 v[68:69], v[68:69], v[86:87]
	v_fma_f64 v[86:87], v[146:147], s[18:19], -v[88:89]
	v_fma_f64 v[88:89], v[20:21], s[22:23], -v[92:93]
	;; [unrolled: 1-line block ×3, first 2 shown]
	v_add_f64 v[92:93], v[42:43], v[92:93]
	v_add_f64 v[88:89], v[88:89], v[92:93]
	v_fma_f64 v[84:85], v[148:149], s[12:13], -v[84:85]
	v_add_f64 v[86:87], v[86:87], v[88:89]
	v_fma_f64 v[80:81], v[122:123], s[28:29], -v[80:81]
	;; [unrolled: 2-line block ×5, first 2 shown]
	v_add_f64 v[74:75], v[74:75], v[76:77]
	v_fmac_f64_e32 v[202:203], s[10:11], v[166:167]
	v_add_f64 v[74:75], v[72:73], v[74:75]
	v_fmac_f64_e32 v[198:199], s[22:23], v[164:165]
	;; [unrolled: 2-line block ×3, first 2 shown]
	v_add_f64 v[72:73], v[198:199], v[72:73]
	v_mul_f64 v[192:193], v[28:29], s[42:43]
	v_fmac_f64_e32 v[190:191], s[12:13], v[158:159]
	v_add_f64 v[72:73], v[194:195], v[72:73]
	v_mul_f64 v[188:189], v[154:155], s[34:35]
	v_fma_f64 v[194:195], s[0:1], v[138:139], v[192:193]
	v_mul_f64 v[212:213], v[182:183], s[42:43]
	v_fmac_f64_e32 v[186:187], s[28:29], v[150:151]
	v_add_f64 v[72:73], v[190:191], v[72:73]
	v_mul_f64 v[184:185], v[22:23], s[50:51]
	v_fma_f64 v[190:191], s[28:29], v[20:21], v[188:189]
	v_add_f64 v[194:195], v[42:43], v[194:195]
	v_mul_f64 v[208:209], v[180:181], s[34:35]
	v_fma_f64 v[214:215], v[166:167], s[0:1], -v[212:213]
	v_add_f64 v[72:73], v[186:187], v[72:73]
	v_mul_f64 v[92:93], v[152:153], s[36:37]
	v_fma_f64 v[186:187], s[10:11], v[146:147], v[184:185]
	v_add_f64 v[190:191], v[190:191], v[194:195]
	v_mul_f64 v[202:203], v[178:179], s[50:51]
	v_fma_f64 v[210:211], v[164:165], s[28:29], -v[208:209]
	v_add_f64 v[214:215], v[40:41], v[214:215]
	v_fmac_f64_e32 v[90:91], s[0:1], v[142:143]
	v_mul_f64 v[88:89], v[156:157], s[48:49]
	v_fma_f64 v[94:95], s[24:25], v[148:149], v[92:93]
	v_add_f64 v[186:187], v[186:187], v[190:191]
	v_mul_f64 v[198:199], v[38:39], s[36:37]
	v_fma_f64 v[206:207], v[162:163], s[10:11], -v[202:203]
	v_add_f64 v[210:211], v[210:211], v[214:215]
	v_fmac_f64_e32 v[82:83], s[24:25], v[26:27]
	v_add_f64 v[72:73], v[90:91], v[72:73]
	v_mul_f64 v[84:85], v[160:161], s[26:27]
	v_fma_f64 v[90:91], s[12:13], v[122:123], v[88:89]
	v_add_f64 v[94:95], v[94:95], v[186:187]
	v_mul_f64 v[194:195], v[36:37], s[48:49]
	v_fma_f64 v[200:201], v[158:159], s[24:25], -v[198:199]
	v_add_f64 v[206:207], v[206:207], v[210:211]
	v_fmac_f64_e32 v[78:79], s[16:17], v[24:25]
	v_add_f64 v[72:73], v[82:83], v[72:73]
	v_mul_f64 v[82:83], v[170:171], s[52:53]
	v_fma_f64 v[86:87], s[22:23], v[16:17], v[84:85]
	v_add_f64 v[90:91], v[90:91], v[94:95]
	v_mul_f64 v[186:187], v[34:35], s[26:27]
	v_fma_f64 v[196:197], v[150:151], s[12:13], -v[194:195]
	v_add_f64 v[200:201], v[200:201], v[206:207]
	v_add_f64 v[72:73], v[78:79], v[72:73]
	v_mul_f64 v[80:81], v[176:177], s[40:41]
	v_fma_f64 v[78:79], s[16:17], v[10:11], v[82:83]
	v_add_f64 v[86:87], v[86:87], v[90:91]
	v_mul_f64 v[90:91], v[32:33], s[52:53]
	v_fma_f64 v[190:191], v[142:143], s[22:23], -v[186:187]
	v_add_f64 v[196:197], v[196:197], v[200:201]
	v_fma_f64 v[76:77], s[18:19], v[0:1], v[80:81]
	v_add_f64 v[78:79], v[78:79], v[86:87]
	v_mul_f64 v[86:87], v[30:31], s[40:41]
	v_fma_f64 v[94:95], v[26:27], s[16:17], -v[90:91]
	v_add_f64 v[190:191], v[190:191], v[196:197]
	v_add_f64 v[78:79], v[76:77], v[78:79]
	v_fma_f64 v[76:77], v[24:25], s[18:19], -v[86:87]
	v_add_f64 v[94:95], v[94:95], v[190:191]
	v_add_f64 v[76:77], v[76:77], v[94:95]
	v_fma_f64 v[94:95], v[146:147], s[10:11], -v[184:185]
	v_fma_f64 v[184:185], v[20:21], s[28:29], -v[188:189]
	;; [unrolled: 1-line block ×3, first 2 shown]
	v_add_f64 v[188:189], v[42:43], v[188:189]
	v_add_f64 v[184:185], v[184:185], v[188:189]
	v_fma_f64 v[92:93], v[148:149], s[24:25], -v[92:93]
	v_add_f64 v[94:95], v[94:95], v[184:185]
	v_fma_f64 v[88:89], v[122:123], s[12:13], -v[88:89]
	;; [unrolled: 2-line block ×5, first 2 shown]
	v_add_f64 v[82:83], v[82:83], v[84:85]
	v_fmac_f64_e32 v[212:213], s[0:1], v[166:167]
	v_add_f64 v[82:83], v[80:81], v[82:83]
	v_fmac_f64_e32 v[208:209], s[28:29], v[164:165]
	;; [unrolled: 2-line block ×3, first 2 shown]
	v_add_f64 v[80:81], v[208:209], v[80:81]
	v_mul_f64 v[200:201], v[28:29], s[48:49]
	v_fmac_f64_e32 v[198:199], s[24:25], v[158:159]
	v_add_f64 v[80:81], v[202:203], v[80:81]
	s_mov_b32 s47, 0x3fc7851a
	s_mov_b32 s46, s34
	v_mul_f64 v[196:197], v[154:155], s[20:21]
	v_fma_f64 v[202:203], s[12:13], v[138:139], v[200:201]
	v_mul_f64 v[220:221], v[182:183], s[48:49]
	v_fmac_f64_e32 v[194:195], s[12:13], v[150:151]
	v_add_f64 v[80:81], v[198:199], v[80:81]
	v_mul_f64 v[192:193], v[22:23], s[46:47]
	v_fma_f64 v[198:199], s[16:17], v[20:21], v[196:197]
	v_add_f64 v[202:203], v[42:43], v[202:203]
	v_mul_f64 v[216:217], v[180:181], s[20:21]
	v_fma_f64 v[222:223], v[166:167], s[12:13], -v[220:221]
	v_add_f64 v[80:81], v[194:195], v[80:81]
	v_mul_f64 v[188:189], v[152:153], s[50:51]
	v_fma_f64 v[194:195], s[28:29], v[146:147], v[192:193]
	v_add_f64 v[198:199], v[198:199], v[202:203]
	v_mul_f64 v[212:213], v[178:179], s[46:47]
	v_fma_f64 v[218:219], v[164:165], s[16:17], -v[216:217]
	v_add_f64 v[222:223], v[40:41], v[222:223]
	v_fmac_f64_e32 v[186:187], s[22:23], v[142:143]
	v_mul_f64 v[184:185], v[156:157], s[40:41]
	v_fma_f64 v[190:191], s[10:11], v[148:149], v[188:189]
	v_add_f64 v[194:195], v[194:195], v[198:199]
	v_mul_f64 v[208:209], v[38:39], s[50:51]
	v_fma_f64 v[214:215], v[162:163], s[28:29], -v[212:213]
	v_add_f64 v[218:219], v[218:219], v[222:223]
	v_fmac_f64_e32 v[90:91], s[16:17], v[26:27]
	v_add_f64 v[80:81], v[186:187], v[80:81]
	v_mul_f64 v[92:93], v[160:161], s[38:39]
	v_fma_f64 v[186:187], s[18:19], v[122:123], v[184:185]
	v_add_f64 v[190:191], v[190:191], v[194:195]
	v_mul_f64 v[202:203], v[36:37], s[40:41]
	v_fma_f64 v[210:211], v[158:159], s[10:11], -v[208:209]
	v_add_f64 v[214:215], v[214:215], v[218:219]
	v_fmac_f64_e32 v[86:87], s[18:19], v[24:25]
	v_add_f64 v[80:81], v[90:91], v[80:81]
	v_mul_f64 v[90:91], v[170:171], s[42:43]
	v_fma_f64 v[94:95], s[24:25], v[16:17], v[92:93]
	v_add_f64 v[186:187], v[186:187], v[190:191]
	v_mul_f64 v[194:195], v[34:35], s[38:39]
	v_fma_f64 v[206:207], v[150:151], s[18:19], -v[202:203]
	v_add_f64 v[210:211], v[210:211], v[214:215]
	v_add_f64 v[80:81], v[86:87], v[80:81]
	v_mul_f64 v[88:89], v[176:177], s[26:27]
	v_fma_f64 v[86:87], s[0:1], v[10:11], v[90:91]
	v_add_f64 v[94:95], v[94:95], v[186:187]
	v_mul_f64 v[190:191], v[32:33], s[42:43]
	v_fma_f64 v[198:199], v[142:143], s[24:25], -v[194:195]
	v_add_f64 v[206:207], v[206:207], v[210:211]
	v_fma_f64 v[84:85], s[22:23], v[0:1], v[88:89]
	v_add_f64 v[86:87], v[86:87], v[94:95]
	v_mul_f64 v[186:187], v[30:31], s[26:27]
	v_fma_f64 v[94:95], v[26:27], s[0:1], -v[190:191]
	v_add_f64 v[198:199], v[198:199], v[206:207]
	v_add_f64 v[86:87], v[84:85], v[86:87]
	v_fma_f64 v[84:85], v[24:25], s[22:23], -v[186:187]
	v_add_f64 v[94:95], v[94:95], v[198:199]
	v_add_f64 v[84:85], v[84:85], v[94:95]
	v_fma_f64 v[94:95], v[122:123], s[18:19], -v[184:185]
	v_fma_f64 v[184:185], v[148:149], s[10:11], -v[188:189]
	;; [unrolled: 1-line block ×5, first 2 shown]
	v_add_f64 v[196:197], v[42:43], v[196:197]
	v_add_f64 v[192:193], v[192:193], v[196:197]
	;; [unrolled: 1-line block ×4, first 2 shown]
	v_fma_f64 v[92:93], v[16:17], s[24:25], -v[92:93]
	v_add_f64 v[94:95], v[94:95], v[184:185]
	v_fma_f64 v[90:91], v[10:11], s[0:1], -v[90:91]
	v_add_f64 v[92:93], v[92:93], v[94:95]
	v_fma_f64 v[88:89], v[0:1], s[22:23], -v[88:89]
	v_add_f64 v[90:91], v[90:91], v[92:93]
	v_fmac_f64_e32 v[220:221], s[12:13], v[166:167]
	v_add_f64 v[94:95], v[88:89], v[90:91]
	v_fmac_f64_e32 v[216:217], s[16:17], v[164:165]
	v_add_f64 v[88:89], v[40:41], v[220:221]
	;; [unrolled: 2-line block ×3, first 2 shown]
	v_mul_f64 v[210:211], v[28:29], s[44:45]
	v_fmac_f64_e32 v[208:209], s[10:11], v[158:159]
	v_add_f64 v[88:89], v[212:213], v[88:89]
	v_mul_f64 v[206:207], v[154:155], s[42:43]
	v_fma_f64 v[212:213], s[18:19], v[138:139], v[210:211]
	v_mul_f64 v[228:229], v[182:183], s[44:45]
	v_fmac_f64_e32 v[202:203], s[18:19], v[150:151]
	v_add_f64 v[88:89], v[208:209], v[88:89]
	v_mul_f64 v[200:201], v[22:23], s[20:21]
	v_fma_f64 v[208:209], s[0:1], v[20:21], v[206:207]
	v_add_f64 v[212:213], v[42:43], v[212:213]
	v_mul_f64 v[224:225], v[180:181], s[42:43]
	v_fma_f64 v[230:231], v[166:167], s[18:19], -v[228:229]
	v_fmac_f64_e32 v[194:195], s[24:25], v[142:143]
	v_add_f64 v[88:89], v[202:203], v[88:89]
	v_mul_f64 v[196:197], v[152:153], s[34:35]
	v_fma_f64 v[202:203], s[16:17], v[146:147], v[200:201]
	v_add_f64 v[208:209], v[208:209], v[212:213]
	v_mul_f64 v[220:221], v[178:179], s[20:21]
	v_fma_f64 v[226:227], v[164:165], s[0:1], -v[224:225]
	v_add_f64 v[230:231], v[40:41], v[230:231]
	v_fmac_f64_e32 v[190:191], s[0:1], v[26:27]
	v_add_f64 v[88:89], v[194:195], v[88:89]
	v_mul_f64 v[192:193], v[156:157], s[54:55]
	v_fma_f64 v[198:199], s[28:29], v[148:149], v[196:197]
	v_add_f64 v[202:203], v[202:203], v[208:209]
	v_mul_f64 v[216:217], v[38:39], s[34:35]
	v_fma_f64 v[222:223], v[162:163], s[16:17], -v[220:221]
	v_add_f64 v[226:227], v[226:227], v[230:231]
	;; [unrolled: 8-line block ×3, first 2 shown]
	v_add_f64 v[92:93], v[186:187], v[88:89]
	v_mul_f64 v[186:187], v[170:171], s[30:31]
	v_fma_f64 v[190:191], s[10:11], v[16:17], v[188:189]
	v_add_f64 v[194:195], v[194:195], v[198:199]
	v_mul_f64 v[202:203], v[34:35], s[50:51]
	v_fma_f64 v[214:215], v[150:151], s[22:23], -v[212:213]
	v_add_f64 v[218:219], v[218:219], v[222:223]
	v_mul_f64 v[184:185], v[176:177], s[36:37]
	v_fma_f64 v[90:91], s[12:13], v[10:11], v[186:187]
	v_add_f64 v[190:191], v[190:191], v[194:195]
	v_mul_f64 v[194:195], v[32:33], s[30:31]
	v_fma_f64 v[208:209], v[142:143], s[10:11], -v[202:203]
	v_add_f64 v[214:215], v[214:215], v[218:219]
	v_fma_f64 v[88:89], s[24:25], v[0:1], v[184:185]
	v_add_f64 v[90:91], v[90:91], v[190:191]
	v_mul_f64 v[190:191], v[30:31], s[36:37]
	v_fma_f64 v[198:199], v[26:27], s[12:13], -v[194:195]
	v_add_f64 v[208:209], v[208:209], v[214:215]
	v_add_f64 v[90:91], v[88:89], v[90:91]
	v_fma_f64 v[88:89], v[24:25], s[24:25], -v[190:191]
	v_add_f64 v[198:199], v[198:199], v[208:209]
	v_add_f64 v[88:89], v[88:89], v[198:199]
	v_fma_f64 v[198:199], v[146:147], s[16:17], -v[200:201]
	v_fma_f64 v[200:201], v[20:21], s[0:1], -v[206:207]
	;; [unrolled: 1-line block ×3, first 2 shown]
	v_add_f64 v[206:207], v[42:43], v[206:207]
	v_add_f64 v[200:201], v[200:201], v[206:207]
	v_fma_f64 v[196:197], v[148:149], s[28:29], -v[196:197]
	v_add_f64 v[198:199], v[198:199], v[200:201]
	v_fma_f64 v[192:193], v[122:123], s[22:23], -v[192:193]
	v_add_f64 v[196:197], v[196:197], v[198:199]
	v_fma_f64 v[188:189], v[16:17], s[10:11], -v[188:189]
	v_add_f64 v[192:193], v[192:193], v[196:197]
	v_fma_f64 v[186:187], v[10:11], s[12:13], -v[186:187]
	v_add_f64 v[188:189], v[188:189], v[192:193]
	v_fma_f64 v[184:185], v[0:1], s[24:25], -v[184:185]
	v_add_f64 v[186:187], v[186:187], v[188:189]
	v_fmac_f64_e32 v[228:229], s[18:19], v[166:167]
	v_add_f64 v[186:187], v[184:185], v[186:187]
	v_fmac_f64_e32 v[224:225], s[0:1], v[164:165]
	;; [unrolled: 2-line block ×6, first 2 shown]
	v_add_f64 v[184:185], v[212:213], v[184:185]
	v_mul_f64 v[28:29], v[28:29], s[38:39]
	v_add_f64 v[184:185], v[202:203], v[184:185]
	v_mul_f64 v[200:201], v[154:155], s[44:45]
	v_fma_f64 v[202:203], s[24:25], v[138:139], v[28:29]
	v_fma_f64 v[28:29], v[138:139], s[24:25], -v[28:29]
	v_mul_f64 v[22:23], v[22:23], s[48:49]
	v_fma_f64 v[154:155], s[18:19], v[20:21], v[200:201]
	v_fma_f64 v[20:21], v[20:21], s[18:19], -v[200:201]
	v_add_f64 v[28:29], v[42:43], v[28:29]
	v_mul_f64 v[196:197], v[152:153], s[42:43]
	v_fma_f64 v[198:199], s[12:13], v[146:147], v[22:23]
	v_fma_f64 v[22:23], v[146:147], s[12:13], -v[22:23]
	v_add_f64 v[20:21], v[20:21], v[28:29]
	v_fmac_f64_e32 v[194:195], s[12:13], v[26:27]
	v_mul_f64 v[156:157], v[156:157], s[14:15]
	v_fma_f64 v[152:153], s[0:1], v[148:149], v[196:197]
	v_fma_f64 v[148:149], v[148:149], s[0:1], -v[196:197]
	v_add_f64 v[20:21], v[22:23], v[20:21]
	v_add_f64 v[184:185], v[194:195], v[184:185]
	v_mul_f64 v[160:161], v[160:161], s[20:21]
	v_fma_f64 v[194:195], s[10:11], v[122:123], v[156:157]
	v_fma_f64 v[122:123], v[122:123], s[10:11], -v[156:157]
	v_add_f64 v[20:21], v[148:149], v[20:21]
	v_fmac_f64_e32 v[190:191], s[24:25], v[24:25]
	v_mul_f64 v[170:171], v[170:171], s[26:27]
	v_fma_f64 v[192:193], s[16:17], v[16:17], v[160:161]
	v_fma_f64 v[16:17], v[16:17], s[16:17], -v[160:161]
	v_add_f64 v[20:21], v[122:123], v[20:21]
	v_add_f64 v[184:185], v[190:191], v[184:185]
	v_mul_f64 v[176:177], v[176:177], s[34:35]
	v_fma_f64 v[190:191], s[22:23], v[10:11], v[170:171]
	v_add_f64 v[202:203], v[42:43], v[202:203]
	v_mul_f64 v[182:183], v[182:183], s[38:39]
	v_fma_f64 v[10:11], v[10:11], s[22:23], -v[170:171]
	v_add_f64 v[16:17], v[16:17], v[20:21]
	v_fma_f64 v[188:189], s[28:29], v[0:1], v[176:177]
	v_add_f64 v[154:155], v[154:155], v[202:203]
	v_mul_f64 v[180:181], v[180:181], s[44:45]
	v_fma_f64 v[206:207], v[166:167], s[24:25], -v[182:183]
	v_fma_f64 v[0:1], v[0:1], s[28:29], -v[176:177]
	v_add_f64 v[10:11], v[10:11], v[16:17]
	v_fmac_f64_e32 v[182:183], s[24:25], v[166:167]
	v_add_f64 v[154:155], v[198:199], v[154:155]
	v_mul_f64 v[178:179], v[178:179], s[48:49]
	v_fma_f64 v[202:203], v[164:165], s[18:19], -v[180:181]
	v_add_f64 v[22:23], v[0:1], v[10:11]
	v_fmac_f64_e32 v[180:181], s[18:19], v[164:165]
	v_add_f64 v[0:1], v[40:41], v[182:183]
	v_add_f64 v[152:153], v[152:153], v[154:155]
	v_mul_f64 v[38:39], v[38:39], s[42:43]
	v_fma_f64 v[198:199], v[162:163], s[12:13], -v[178:179]
	v_fmac_f64_e32 v[178:179], s[12:13], v[162:163]
	v_add_f64 v[0:1], v[180:181], v[0:1]
	v_add_f64 v[152:153], v[194:195], v[152:153]
	v_mul_f64 v[36:37], v[36:37], s[14:15]
	v_fma_f64 v[194:195], v[158:159], s[0:1], -v[38:39]
	;; [unrolled: 5-line block ×5, first 2 shown]
	v_fmac_f64_e32 v[32:33], s[22:23], v[26:27]
	v_add_f64 v[0:1], v[34:35], v[0:1]
	v_fma_f64 v[152:153], v[24:25], s[28:29], -v[30:31]
	v_fmac_f64_e32 v[30:31], s[28:29], v[24:25]
	v_add_f64 v[0:1], v[32:33], v[0:1]
	v_add_f64 v[20:21], v[30:31], v[0:1]
	;; [unrolled: 1-line block ×42, first 2 shown]
	ds_write_b128 v204, v[4:7]
	ds_write_b128 v204, v[20:23] offset:800
	ds_write_b128 v204, v[184:187] offset:1600
	;; [unrolled: 1-line block ×16, first 2 shown]
.LBB0_9:
	s_or_b64 exec, exec, s[8:9]
	scratch_load_dwordx2 v[6:7], off, off offset:36 ; 8-byte Folded Reload
	s_waitcnt lgkmcnt(0)
	s_barrier
	ds_read_b128 v[0:3], v204
	v_accvgpr_read_b32 v16, a16
	v_accvgpr_read_b32 v18, a18
	;; [unrolled: 1-line block ×4, first 2 shown]
	v_mov_b32_e32 v12, s2
	v_mov_b32_e32 v13, s3
	s_waitcnt vmcnt(0)
	v_mad_u64_u32 v[14:15], s[0:1], s6, v6, 0
	v_mov_b32_e32 v4, v15
	v_mad_u64_u32 v[4:5], s[0:1], s7, v6, v[4:5]
	v_mov_b32_e32 v15, v4
	ds_read_b128 v[4:7], v204 offset:1360
	s_waitcnt lgkmcnt(1)
	v_mul_f64 v[8:9], v[18:19], v[2:3]
	v_fmac_f64_e32 v[8:9], v[16:17], v[0:1]
	v_mul_f64 v[0:1], v[18:19], v[0:1]
	v_fma_f64 v[0:1], v[16:17], v[2:3], -v[0:1]
	scratch_load_dword v3, off, off offset:44 ; 4-byte Folded Reload
	scratch_load_dwordx4 v[16:19], off, off offset:128 ; 16-byte Folded Reload
	s_mov_b32 s0, 0xace01346
	s_mov_b32 s1, 0x3f534679
	v_mul_f64 v[10:11], v[0:1], s[0:1]
	v_mul_f64 v[8:9], v[8:9], s[0:1]
	s_waitcnt vmcnt(1)
	v_mad_u64_u32 v[0:1], s[2:3], s4, v3, 0
	v_mov_b32_e32 v2, v1
	v_mad_u64_u32 v[2:3], s[2:3], s5, v3, v[2:3]
	v_mov_b32_e32 v1, v2
	v_lshl_add_u64 v[2:3], v[14:15], 4, v[12:13]
	v_lshl_add_u64 v[12:13], v[0:1], 4, v[2:3]
	global_store_dwordx4 v[12:13], v[8:11], off
	scratch_load_dwordx4 v[8:11], off, off offset:144 ; 16-byte Folded Reload
	v_mov_b32_e32 v14, 0x550
	v_mad_u64_u32 v[12:13], s[2:3], s4, v14, v[12:13]
	s_mul_i32 s2, s5, 0x550
	s_nop 0
	v_add_u32_e32 v13, s2, v13
	s_waitcnt vmcnt(0) lgkmcnt(0)
	v_mul_f64 v[0:1], v[10:11], v[6:7]
	v_mul_f64 v[2:3], v[10:11], v[4:5]
	v_fmac_f64_e32 v[0:1], v[8:9], v[4:5]
	v_fma_f64 v[2:3], v[8:9], v[6:7], -v[2:3]
	ds_read_b128 v[4:7], v204 offset:2720
	v_mul_f64 v[0:1], v[0:1], s[0:1]
	v_mul_f64 v[2:3], v[2:3], s[0:1]
	global_store_dwordx4 v[12:13], v[0:3], off
	ds_read_b128 v[0:3], v204 offset:4080
	s_waitcnt lgkmcnt(1)
	v_mul_f64 v[8:9], v[18:19], v[6:7]
	v_fmac_f64_e32 v[8:9], v[16:17], v[4:5]
	v_mul_f64 v[4:5], v[18:19], v[4:5]
	v_fma_f64 v[4:5], v[16:17], v[6:7], -v[4:5]
	v_mad_u64_u32 v[12:13], s[6:7], s4, v14, v[12:13]
	v_mul_f64 v[8:9], v[8:9], s[0:1]
	v_mul_f64 v[10:11], v[4:5], s[0:1]
	v_add_u32_e32 v13, s2, v13
	global_store_dwordx4 v[12:13], v[8:11], off
	scratch_load_dwordx4 v[6:9], off, off offset:112 ; 16-byte Folded Reload
	v_mad_u64_u32 v[12:13], s[6:7], s4, v14, v[12:13]
	scratch_load_dwordx4 v[16:19], off, off offset:96 ; 16-byte Folded Reload
	v_add_u32_e32 v13, s2, v13
	s_waitcnt vmcnt(1) lgkmcnt(0)
	v_mul_f64 v[4:5], v[8:9], v[2:3]
	v_fmac_f64_e32 v[4:5], v[6:7], v[0:1]
	v_mul_f64 v[0:1], v[8:9], v[0:1]
	v_fma_f64 v[0:1], v[6:7], v[2:3], -v[0:1]
	v_mul_f64 v[6:7], v[0:1], s[0:1]
	ds_read_b128 v[0:3], v204 offset:5440
	v_mul_f64 v[4:5], v[4:5], s[0:1]
	global_store_dwordx4 v[12:13], v[4:7], off
	ds_read_b128 v[4:7], v204 offset:6800
	v_mad_u64_u32 v[12:13], s[6:7], s4, v14, v[12:13]
	s_waitcnt vmcnt(1) lgkmcnt(1)
	v_mul_f64 v[8:9], v[18:19], v[2:3]
	v_fmac_f64_e32 v[8:9], v[16:17], v[0:1]
	v_mul_f64 v[0:1], v[18:19], v[0:1]
	v_fma_f64 v[0:1], v[16:17], v[2:3], -v[0:1]
	v_mul_f64 v[8:9], v[8:9], s[0:1]
	v_mul_f64 v[10:11], v[0:1], s[0:1]
	v_add_u32_e32 v13, s2, v13
	global_store_dwordx4 v[12:13], v[8:11], off
	scratch_load_dwordx4 v[8:11], off, off offset:80 ; 16-byte Folded Reload
	v_mad_u64_u32 v[12:13], s[6:7], s4, v14, v[12:13]
	scratch_load_dwordx4 v[16:19], off, off offset:64 ; 16-byte Folded Reload
	v_add_u32_e32 v13, s2, v13
	s_waitcnt vmcnt(1) lgkmcnt(0)
	v_mul_f64 v[0:1], v[10:11], v[6:7]
	v_mul_f64 v[2:3], v[10:11], v[4:5]
	v_fmac_f64_e32 v[0:1], v[8:9], v[4:5]
	v_fma_f64 v[2:3], v[8:9], v[6:7], -v[2:3]
	ds_read_b128 v[4:7], v204 offset:8160
	v_mul_f64 v[0:1], v[0:1], s[0:1]
	v_mul_f64 v[2:3], v[2:3], s[0:1]
	global_store_dwordx4 v[12:13], v[0:3], off
	ds_read_b128 v[0:3], v204 offset:9520
	s_waitcnt vmcnt(1) lgkmcnt(1)
	v_mul_f64 v[8:9], v[18:19], v[6:7]
	v_fmac_f64_e32 v[8:9], v[16:17], v[4:5]
	v_mul_f64 v[4:5], v[18:19], v[4:5]
	v_fma_f64 v[4:5], v[16:17], v[6:7], -v[4:5]
	v_mad_u64_u32 v[12:13], s[6:7], s4, v14, v[12:13]
	v_mul_f64 v[8:9], v[8:9], s[0:1]
	v_mul_f64 v[10:11], v[4:5], s[0:1]
	v_add_u32_e32 v13, s2, v13
	global_store_dwordx4 v[12:13], v[8:11], off
	scratch_load_dwordx4 v[6:9], off, off offset:48 ; 16-byte Folded Reload
	v_mad_u64_u32 v[12:13], s[6:7], s4, v14, v[12:13]
	scratch_load_dwordx4 v[16:19], off, off offset:20 ; 16-byte Folded Reload
	v_add_u32_e32 v13, s2, v13
	s_waitcnt vmcnt(1) lgkmcnt(0)
	v_mul_f64 v[4:5], v[8:9], v[2:3]
	v_fmac_f64_e32 v[4:5], v[6:7], v[0:1]
	v_mul_f64 v[0:1], v[8:9], v[0:1]
	v_fma_f64 v[0:1], v[6:7], v[2:3], -v[0:1]
	v_mul_f64 v[6:7], v[0:1], s[0:1]
	ds_read_b128 v[0:3], v204 offset:10880
	v_mul_f64 v[4:5], v[4:5], s[0:1]
	global_store_dwordx4 v[12:13], v[4:7], off
	ds_read_b128 v[4:7], v204 offset:12240
	v_mad_u64_u32 v[12:13], s[6:7], s4, v14, v[12:13]
	s_waitcnt vmcnt(1) lgkmcnt(1)
	v_mul_f64 v[8:9], v[18:19], v[2:3]
	v_fmac_f64_e32 v[8:9], v[16:17], v[0:1]
	v_mul_f64 v[0:1], v[18:19], v[0:1]
	v_fma_f64 v[0:1], v[16:17], v[2:3], -v[0:1]
	v_mul_f64 v[8:9], v[8:9], s[0:1]
	v_mul_f64 v[10:11], v[0:1], s[0:1]
	v_add_u32_e32 v13, s2, v13
	global_store_dwordx4 v[12:13], v[8:11], off
	scratch_load_dwordx4 v[8:11], off, off offset:4 ; 16-byte Folded Reload
	s_waitcnt vmcnt(0) lgkmcnt(0)
	v_mul_f64 v[0:1], v[10:11], v[6:7]
	v_mul_f64 v[2:3], v[10:11], v[4:5]
	v_fmac_f64_e32 v[0:1], v[8:9], v[4:5]
	v_fma_f64 v[2:3], v[8:9], v[6:7], -v[2:3]
	v_mul_f64 v[0:1], v[0:1], s[0:1]
	v_mul_f64 v[2:3], v[2:3], s[0:1]
	v_mad_u64_u32 v[4:5], s[0:1], s4, v14, v[12:13]
	v_add_u32_e32 v5, s2, v5
	global_store_dwordx4 v[4:5], v[0:3], off
.LBB0_10:
	s_endpgm
	.section	.rodata,"a",@progbits
	.p2align	6, 0x0
	.amdhsa_kernel bluestein_single_back_len850_dim1_dp_op_CI_CI
		.amdhsa_group_segment_fixed_size 13600
		.amdhsa_private_segment_fixed_size 164
		.amdhsa_kernarg_size 104
		.amdhsa_user_sgpr_count 2
		.amdhsa_user_sgpr_dispatch_ptr 0
		.amdhsa_user_sgpr_queue_ptr 0
		.amdhsa_user_sgpr_kernarg_segment_ptr 1
		.amdhsa_user_sgpr_dispatch_id 0
		.amdhsa_user_sgpr_kernarg_preload_length 0
		.amdhsa_user_sgpr_kernarg_preload_offset 0
		.amdhsa_user_sgpr_private_segment_size 0
		.amdhsa_uses_dynamic_stack 0
		.amdhsa_enable_private_segment 1
		.amdhsa_system_sgpr_workgroup_id_x 1
		.amdhsa_system_sgpr_workgroup_id_y 0
		.amdhsa_system_sgpr_workgroup_id_z 0
		.amdhsa_system_sgpr_workgroup_info 0
		.amdhsa_system_vgpr_workitem_id 0
		.amdhsa_next_free_vgpr 512
		.amdhsa_next_free_sgpr 62
		.amdhsa_accum_offset 256
		.amdhsa_reserve_vcc 1
		.amdhsa_float_round_mode_32 0
		.amdhsa_float_round_mode_16_64 0
		.amdhsa_float_denorm_mode_32 3
		.amdhsa_float_denorm_mode_16_64 3
		.amdhsa_dx10_clamp 1
		.amdhsa_ieee_mode 1
		.amdhsa_fp16_overflow 0
		.amdhsa_tg_split 0
		.amdhsa_exception_fp_ieee_invalid_op 0
		.amdhsa_exception_fp_denorm_src 0
		.amdhsa_exception_fp_ieee_div_zero 0
		.amdhsa_exception_fp_ieee_overflow 0
		.amdhsa_exception_fp_ieee_underflow 0
		.amdhsa_exception_fp_ieee_inexact 0
		.amdhsa_exception_int_div_zero 0
	.end_amdhsa_kernel
	.text
.Lfunc_end0:
	.size	bluestein_single_back_len850_dim1_dp_op_CI_CI, .Lfunc_end0-bluestein_single_back_len850_dim1_dp_op_CI_CI
                                        ; -- End function
	.section	.AMDGPU.csdata,"",@progbits
; Kernel info:
; codeLenInByte = 26100
; NumSgprs: 68
; NumVgprs: 256
; NumAgprs: 256
; TotalNumVgprs: 512
; ScratchSize: 164
; MemoryBound: 0
; FloatMode: 240
; IeeeMode: 1
; LDSByteSize: 13600 bytes/workgroup (compile time only)
; SGPRBlocks: 8
; VGPRBlocks: 63
; NumSGPRsForWavesPerEU: 68
; NumVGPRsForWavesPerEU: 512
; AccumOffset: 256
; Occupancy: 1
; WaveLimiterHint : 1
; COMPUTE_PGM_RSRC2:SCRATCH_EN: 1
; COMPUTE_PGM_RSRC2:USER_SGPR: 2
; COMPUTE_PGM_RSRC2:TRAP_HANDLER: 0
; COMPUTE_PGM_RSRC2:TGID_X_EN: 1
; COMPUTE_PGM_RSRC2:TGID_Y_EN: 0
; COMPUTE_PGM_RSRC2:TGID_Z_EN: 0
; COMPUTE_PGM_RSRC2:TIDIG_COMP_CNT: 0
; COMPUTE_PGM_RSRC3_GFX90A:ACCUM_OFFSET: 63
; COMPUTE_PGM_RSRC3_GFX90A:TG_SPLIT: 0
	.text
	.p2alignl 6, 3212836864
	.fill 256, 4, 3212836864
	.type	__hip_cuid_16969ae78d7762b,@object ; @__hip_cuid_16969ae78d7762b
	.section	.bss,"aw",@nobits
	.globl	__hip_cuid_16969ae78d7762b
__hip_cuid_16969ae78d7762b:
	.byte	0                               ; 0x0
	.size	__hip_cuid_16969ae78d7762b, 1

	.ident	"AMD clang version 19.0.0git (https://github.com/RadeonOpenCompute/llvm-project roc-6.4.0 25133 c7fe45cf4b819c5991fe208aaa96edf142730f1d)"
	.section	".note.GNU-stack","",@progbits
	.addrsig
	.addrsig_sym __hip_cuid_16969ae78d7762b
	.amdgpu_metadata
---
amdhsa.kernels:
  - .agpr_count:     256
    .args:
      - .actual_access:  read_only
        .address_space:  global
        .offset:         0
        .size:           8
        .value_kind:     global_buffer
      - .actual_access:  read_only
        .address_space:  global
        .offset:         8
        .size:           8
        .value_kind:     global_buffer
      - .actual_access:  read_only
        .address_space:  global
        .offset:         16
        .size:           8
        .value_kind:     global_buffer
      - .actual_access:  read_only
        .address_space:  global
        .offset:         24
        .size:           8
        .value_kind:     global_buffer
      - .actual_access:  read_only
        .address_space:  global
        .offset:         32
        .size:           8
        .value_kind:     global_buffer
      - .offset:         40
        .size:           8
        .value_kind:     by_value
      - .address_space:  global
        .offset:         48
        .size:           8
        .value_kind:     global_buffer
      - .address_space:  global
        .offset:         56
        .size:           8
        .value_kind:     global_buffer
      - .address_space:  global
        .offset:         64
        .size:           8
        .value_kind:     global_buffer
      - .address_space:  global
        .offset:         72
        .size:           8
        .value_kind:     global_buffer
      - .offset:         80
        .size:           4
        .value_kind:     by_value
      - .address_space:  global
        .offset:         88
        .size:           8
        .value_kind:     global_buffer
      - .address_space:  global
        .offset:         96
        .size:           8
        .value_kind:     global_buffer
    .group_segment_fixed_size: 13600
    .kernarg_segment_align: 8
    .kernarg_segment_size: 104
    .language:       OpenCL C
    .language_version:
      - 2
      - 0
    .max_flat_workgroup_size: 85
    .name:           bluestein_single_back_len850_dim1_dp_op_CI_CI
    .private_segment_fixed_size: 164
    .sgpr_count:     68
    .sgpr_spill_count: 0
    .symbol:         bluestein_single_back_len850_dim1_dp_op_CI_CI.kd
    .uniform_work_group_size: 1
    .uses_dynamic_stack: false
    .vgpr_count:     512
    .vgpr_spill_count: 40
    .wavefront_size: 64
amdhsa.target:   amdgcn-amd-amdhsa--gfx950
amdhsa.version:
  - 1
  - 2
...

	.end_amdgpu_metadata
